;; amdgpu-corpus repo=ROCm/hip-tests kind=compiled arch=gfx1250 opt=O3
	.amdgcn_target "amdgcn-amd-amdhsa--gfx1250"
	.amdhsa_code_object_version 6
	.text
	.protected	_Z11kernel_shflPiS_ii   ; -- Begin function _Z11kernel_shflPiS_ii
	.globl	_Z11kernel_shflPiS_ii
	.p2align	8
	.type	_Z11kernel_shflPiS_ii,@function
_Z11kernel_shflPiS_ii:                  ; @_Z11kernel_shflPiS_ii
; %bb.0:
	s_clause 0x1
	s_load_b32 s2, s[0:1], 0x24
	s_load_b64 s[4:5], s[0:1], 0x10
	s_bfe_u32 s3, ttmp6, 0x4000c
	s_and_b32 s6, ttmp6, 15
	s_add_co_i32 s3, s3, 1
	s_getreg_b32 s7, hwreg(HW_REG_IB_STS2, 6, 4)
	s_mul_i32 s3, ttmp9, s3
	s_delay_alu instid0(SALU_CYCLE_1)
	s_add_co_i32 s6, s6, s3
	s_wait_kmcnt 0x0
	s_and_b32 s2, s2, 0xffff
	s_cmp_eq_u32 s7, 0
	s_cselect_b32 s3, ttmp9, s6
	s_abs_i32 s5, s5
	v_mad_u32 v0, s3, s2, v0
	s_cvt_f32_u32 s6, s5
	s_sub_co_i32 s3, 0, s5
	s_delay_alu instid0(SALU_CYCLE_2) | instskip(SKIP_1) | instid1(TRANS32_DEP_1)
	v_rcp_iflag_f32_e32 v1, s6
	v_nop
	v_readfirstlane_b32 s2, v1
	s_delay_alu instid0(VALU_DEP_3) | instskip(SKIP_1) | instid1(VALU_DEP_1)
	v_sub_nc_u32_e32 v1, 0, v0
	s_mul_f32 s2, s2, 0x4f7ffffe
	v_dual_ashrrev_i32 v0, 31, v0 :: v_dual_max_i32 v1, v0, v1
	s_delay_alu instid0(SALU_CYCLE_2) | instskip(NEXT) | instid1(SALU_CYCLE_3)
	s_cvt_u32_f32 s2, s2
	s_mul_i32 s3, s3, s2
	s_delay_alu instid0(SALU_CYCLE_1) | instskip(NEXT) | instid1(SALU_CYCLE_1)
	s_mul_hi_u32 s3, s2, s3
	s_add_co_i32 s2, s2, s3
	s_delay_alu instid0(SALU_CYCLE_1) | instskip(SKIP_1) | instid1(VALU_DEP_1)
	v_mul_hi_u32 v2, v1, s2
	s_mov_b32 s2, exec_lo
	v_mul_lo_u32 v2, v2, s5
	s_delay_alu instid0(VALU_DEP_1) | instskip(NEXT) | instid1(VALU_DEP_1)
	v_sub_nc_u32_e32 v1, v1, v2
	v_subrev_nc_u32_e32 v2, s5, v1
	v_cmp_le_u32_e32 vcc_lo, s5, v1
	s_delay_alu instid0(VALU_DEP_2) | instskip(NEXT) | instid1(VALU_DEP_1)
	v_cndmask_b32_e32 v1, v1, v2, vcc_lo
	v_subrev_nc_u32_e32 v2, s5, v1
	v_cmp_le_u32_e32 vcc_lo, s5, v1
	s_delay_alu instid0(VALU_DEP_2) | instskip(NEXT) | instid1(VALU_DEP_1)
	v_cndmask_b32_e32 v1, v1, v2, vcc_lo
	v_xor_b32_e32 v1, v1, v0
	s_delay_alu instid0(VALU_DEP_1) | instskip(NEXT) | instid1(VALU_DEP_1)
	v_sub_nc_u32_e32 v0, v1, v0
	v_cmpx_eq_u32_e32 0, v0
	s_cbranch_execz .LBB0_10
; %bb.1:
	s_load_b128 s[0:3], s[0:1], 0x0
	v_mbcnt_lo_u32_b32 v0, exec_lo, 0
	s_abs_i32 s6, s4
	s_ashr_i32 s4, s4, 31
	s_wait_kmcnt 0x0
	global_load_b32 v1, v0, s[0:1] scale_offset
	s_wait_xcnt 0x0
	s_bcnt1_i32_b32 s0, exec_lo
	s_delay_alu instid0(SALU_CYCLE_1) | instskip(SKIP_1) | instid1(VALU_DEP_1)
	v_cvt_f32_ubyte0_e32 v2, s0
	s_sub_co_i32 s5, 0, s0
	v_rcp_iflag_f32_e32 v2, v2
	v_nop
	s_delay_alu instid0(TRANS32_DEP_1) | instskip(SKIP_1) | instid1(SALU_CYCLE_3)
	v_readfirstlane_b32 s1, v2
	s_mul_f32 s1, s1, 0x4f7ffffe
	s_cvt_u32_f32 s1, s1
	s_delay_alu instid0(SALU_CYCLE_3) | instskip(NEXT) | instid1(SALU_CYCLE_1)
	s_mul_i32 s5, s5, s1
	s_mul_hi_u32 s5, s1, s5
	s_delay_alu instid0(SALU_CYCLE_1) | instskip(NEXT) | instid1(SALU_CYCLE_1)
	s_add_co_i32 s1, s1, s5
	s_mul_hi_u32 s1, s6, s1
	s_delay_alu instid0(SALU_CYCLE_1) | instskip(NEXT) | instid1(SALU_CYCLE_1)
	s_mul_i32 s1, s1, s0
	s_sub_co_i32 s1, s6, s1
	s_delay_alu instid0(SALU_CYCLE_1) | instskip(SKIP_2) | instid1(SALU_CYCLE_1)
	s_sub_co_i32 s5, s1, s0
	s_cmp_ge_u32 s1, s0
	s_cselect_b32 s1, s5, s1
	s_sub_co_i32 s5, s1, s0
	s_cmp_ge_u32 s1, s0
	s_cselect_b32 s0, s5, s1
	s_delay_alu instid0(SALU_CYCLE_1) | instskip(NEXT) | instid1(SALU_CYCLE_1)
	s_xor_b32 s0, s0, s4
	s_sub_co_i32 s0, s0, s4
	s_cmp_eq_u32 exec_lo, -1
	v_mov_b32_e32 v2, s0
	s_mov_b32 s4, -1
	s_cbranch_scc1 .LBB0_9
; %bb.2:
	v_add_co_u32 v2, s5, s0, 1
	s_and_not1_b32 vcc_lo, exec_lo, s5
                                        ; implicit-def: $sgpr6
                                        ; implicit-def: $sgpr5
	v_readfirstlane_b32 s1, v2
	s_cbranch_vccz .LBB0_5
; %bb.3:
	s_cmp_gt_i32 s0, -2
	s_mov_b32 s4, 0
	s_cbranch_scc1 .LBB0_11
; %bb.4:
	s_not_b32 s1, s0
	s_brev_b32 s5, exec_lo
	s_mov_b32 s6, 31
.LBB0_5:
	s_and_not1_b32 vcc_lo, exec_lo, s4
	s_cbranch_vccnz .LBB0_7
.LBB0_6:
	s_mov_b32 s1, 1
	s_and_b32 s5, exec_lo, 1
	s_mov_b32 s6, 0
.LBB0_7:
	s_delay_alu instid0(SALU_CYCLE_1) | instskip(SKIP_2) | instid1(SALU_CYCLE_1)
	s_lshl_b32 s4, -1, s6
	v_mov_b32_e32 v2, -1
	s_and_b32 s4, s4, s5
	s_bcnt1_i32_b32 s5, s4
	s_delay_alu instid0(SALU_CYCLE_1)
	s_cmp_lt_u32 s5, s1
	s_cbranch_scc1 .LBB0_9
; %bb.8:
	s_and_b32 s5, s4, 0xffff
	s_lshr_b32 s4, s4, 16
	s_bcnt1_i32_b32 s6, s5
	s_delay_alu instid0(SALU_CYCLE_1)
	s_cmp_lt_u32 s6, s1
	s_cselect_b32 s4, s4, s5
	s_cselect_b32 s5, s6, 0
	s_cselect_b32 s6, 16, 0
	s_and_b32 s7, s4, 0xff
	s_sub_co_i32 s1, s1, s5
	s_bcnt1_i32_b32 s5, s7
	s_lshr_b32 s4, s4, 8
	s_cmp_lt_i32 s5, s1
	s_cselect_b32 s4, s4, s7
	s_cselect_b32 s5, s5, 0
	s_cselect_b32 s7, 8, 0
	s_sub_co_i32 s1, s1, s5
	s_and_b32 s5, s4, 15
	s_or_b32 s6, s7, s6
	s_bcnt1_i32_b32 s7, s5
	s_lshr_b32 s4, s4, 4
	s_cmp_lt_i32 s7, s1
	s_cselect_b32 s4, s4, s5
	s_cselect_b32 s5, s7, 0
	s_cselect_b32 s7, 4, 0
	s_sub_co_i32 s1, s1, s5
	s_and_b32 s5, s4, 3
	s_or_b32 s6, s6, s7
	s_bcnt1_i32_b32 s5, s5
	s_lshr_b32 s7, s4, 2
	s_cmp_lt_i32 s5, s1
	s_cselect_b32 s4, s7, s4
	s_cselect_b32 s5, s5, 0
	s_cselect_b32 s7, 2, 0
	s_sub_co_i32 s1, s1, s5
	s_and_b32 s4, s4, 1
	s_or_b32 s5, s6, s7
	s_cmp_lt_i32 s4, s1
	s_cselect_b32 s1, -1, 0
	s_cmp_lt_i32 s0, -1
	v_cndmask_b32_e64 v2, 0, 1, s1
	s_cselect_b32 vcc_lo, -1, 0
	s_delay_alu instid0(VALU_DEP_1) | instskip(NEXT) | instid1(VALU_DEP_1)
	v_or_b32_e32 v2, s5, v2
	v_xor_b32_e32 v3, 31, v2
	s_delay_alu instid0(VALU_DEP_1)
	v_cndmask_b32_e32 v2, v2, v3, vcc_lo
.LBB0_9:
	s_delay_alu instid0(VALU_DEP_1) | instskip(NEXT) | instid1(VALU_DEP_1)
	v_and_b32_e32 v2, 31, v2
	v_lshlrev_b32_e32 v2, 2, v2
	s_wait_loadcnt 0x0
	ds_bpermute_b32 v1, v2, v1
	s_wait_dscnt 0x0
	global_store_b32 v0, v1, s[2:3] scale_offset
.LBB0_10:
	s_endpgm
.LBB0_11:
	s_mov_b32 s5, exec_lo
	s_mov_b32 s6, 0
	s_and_not1_b32 vcc_lo, exec_lo, s4
	s_cbranch_vccz .LBB0_6
	s_branch .LBB0_7
	.section	.rodata,"a",@progbits
	.p2align	6, 0x0
	.amdhsa_kernel _Z11kernel_shflPiS_ii
		.amdhsa_group_segment_fixed_size 0
		.amdhsa_private_segment_fixed_size 0
		.amdhsa_kernarg_size 280
		.amdhsa_user_sgpr_count 2
		.amdhsa_user_sgpr_dispatch_ptr 0
		.amdhsa_user_sgpr_queue_ptr 0
		.amdhsa_user_sgpr_kernarg_segment_ptr 1
		.amdhsa_user_sgpr_dispatch_id 0
		.amdhsa_user_sgpr_kernarg_preload_length 0
		.amdhsa_user_sgpr_kernarg_preload_offset 0
		.amdhsa_user_sgpr_private_segment_size 0
		.amdhsa_wavefront_size32 1
		.amdhsa_uses_dynamic_stack 0
		.amdhsa_enable_private_segment 0
		.amdhsa_system_sgpr_workgroup_id_x 1
		.amdhsa_system_sgpr_workgroup_id_y 0
		.amdhsa_system_sgpr_workgroup_id_z 0
		.amdhsa_system_sgpr_workgroup_info 0
		.amdhsa_system_vgpr_workitem_id 0
		.amdhsa_next_free_vgpr 4
		.amdhsa_next_free_sgpr 8
		.amdhsa_named_barrier_count 0
		.amdhsa_reserve_vcc 1
		.amdhsa_float_round_mode_32 0
		.amdhsa_float_round_mode_16_64 0
		.amdhsa_float_denorm_mode_32 3
		.amdhsa_float_denorm_mode_16_64 3
		.amdhsa_fp16_overflow 0
		.amdhsa_memory_ordered 1
		.amdhsa_forward_progress 1
		.amdhsa_inst_pref_size 7
		.amdhsa_round_robin_scheduling 0
		.amdhsa_exception_fp_ieee_invalid_op 0
		.amdhsa_exception_fp_denorm_src 0
		.amdhsa_exception_fp_ieee_div_zero 0
		.amdhsa_exception_fp_ieee_overflow 0
		.amdhsa_exception_fp_ieee_underflow 0
		.amdhsa_exception_fp_ieee_inexact 0
		.amdhsa_exception_int_div_zero 0
	.end_amdhsa_kernel
	.text
.Lfunc_end0:
	.size	_Z11kernel_shflPiS_ii, .Lfunc_end0-_Z11kernel_shflPiS_ii
                                        ; -- End function
	.set _Z11kernel_shflPiS_ii.num_vgpr, 4
	.set _Z11kernel_shflPiS_ii.num_agpr, 0
	.set _Z11kernel_shflPiS_ii.numbered_sgpr, 8
	.set _Z11kernel_shflPiS_ii.num_named_barrier, 0
	.set _Z11kernel_shflPiS_ii.private_seg_size, 0
	.set _Z11kernel_shflPiS_ii.uses_vcc, 1
	.set _Z11kernel_shflPiS_ii.uses_flat_scratch, 0
	.set _Z11kernel_shflPiS_ii.has_dyn_sized_stack, 0
	.set _Z11kernel_shflPiS_ii.has_recursion, 0
	.set _Z11kernel_shflPiS_ii.has_indirect_call, 0
	.section	.AMDGPU.csdata,"",@progbits
; Kernel info:
; codeLenInByte = 784
; TotalNumSgprs: 10
; NumVgprs: 4
; ScratchSize: 0
; MemoryBound: 0
; FloatMode: 240
; IeeeMode: 1
; LDSByteSize: 0 bytes/workgroup (compile time only)
; SGPRBlocks: 0
; VGPRBlocks: 0
; NumSGPRsForWavesPerEU: 10
; NumVGPRsForWavesPerEU: 4
; NamedBarCnt: 0
; Occupancy: 16
; WaveLimiterHint : 0
; COMPUTE_PGM_RSRC2:SCRATCH_EN: 0
; COMPUTE_PGM_RSRC2:USER_SGPR: 2
; COMPUTE_PGM_RSRC2:TRAP_HANDLER: 0
; COMPUTE_PGM_RSRC2:TGID_X_EN: 1
; COMPUTE_PGM_RSRC2:TGID_Y_EN: 0
; COMPUTE_PGM_RSRC2:TGID_Z_EN: 0
; COMPUTE_PGM_RSRC2:TIDIG_COMP_CNT: 0
	.text
	.protected	_Z22kernel_shfl_any_to_anyPiS_S_i ; -- Begin function _Z22kernel_shfl_any_to_anyPiS_S_i
	.globl	_Z22kernel_shfl_any_to_anyPiS_S_i
	.p2align	8
	.type	_Z22kernel_shfl_any_to_anyPiS_S_i,@function
_Z22kernel_shfl_any_to_anyPiS_S_i:      ; @_Z22kernel_shfl_any_to_anyPiS_S_i
; %bb.0:
	s_clause 0x1
	s_load_b32 s2, s[0:1], 0x2c
	s_load_b32 s3, s[0:1], 0x18
	s_bfe_u32 s4, ttmp6, 0x4000c
	s_and_b32 s5, ttmp6, 15
	s_add_co_i32 s4, s4, 1
	s_getreg_b32 s6, hwreg(HW_REG_IB_STS2, 6, 4)
	s_mul_i32 s4, ttmp9, s4
	s_delay_alu instid0(SALU_CYCLE_1)
	s_add_co_i32 s5, s5, s4
	s_wait_kmcnt 0x0
	s_and_b32 s2, s2, 0xffff
	s_cmp_eq_u32 s6, 0
	s_cselect_b32 s4, ttmp9, s5
	s_abs_i32 s3, s3
	v_mad_u32 v0, s4, s2, v0
	s_cvt_f32_u32 s5, s3
	s_sub_co_i32 s4, 0, s3
	s_delay_alu instid0(SALU_CYCLE_2) | instskip(SKIP_1) | instid1(TRANS32_DEP_1)
	v_rcp_iflag_f32_e32 v1, s5
	v_nop
	v_readfirstlane_b32 s2, v1
	s_delay_alu instid0(VALU_DEP_3) | instskip(SKIP_1) | instid1(VALU_DEP_1)
	v_sub_nc_u32_e32 v1, 0, v0
	s_mul_f32 s2, s2, 0x4f7ffffe
	v_dual_ashrrev_i32 v0, 31, v0 :: v_dual_max_i32 v1, v0, v1
	s_delay_alu instid0(SALU_CYCLE_2) | instskip(NEXT) | instid1(SALU_CYCLE_3)
	s_cvt_u32_f32 s2, s2
	s_mul_i32 s4, s4, s2
	s_delay_alu instid0(SALU_CYCLE_1) | instskip(NEXT) | instid1(SALU_CYCLE_1)
	s_mul_hi_u32 s4, s2, s4
	s_add_co_i32 s2, s2, s4
	s_delay_alu instid0(SALU_CYCLE_1) | instskip(SKIP_1) | instid1(VALU_DEP_1)
	v_mul_hi_u32 v2, v1, s2
	s_mov_b32 s2, exec_lo
	v_mul_lo_u32 v2, v2, s3
	s_delay_alu instid0(VALU_DEP_1) | instskip(NEXT) | instid1(VALU_DEP_1)
	v_sub_nc_u32_e32 v1, v1, v2
	v_subrev_nc_u32_e32 v2, s3, v1
	v_cmp_le_u32_e32 vcc_lo, s3, v1
	s_delay_alu instid0(VALU_DEP_2) | instskip(NEXT) | instid1(VALU_DEP_1)
	v_cndmask_b32_e32 v1, v1, v2, vcc_lo
	v_subrev_nc_u32_e32 v2, s3, v1
	v_cmp_le_u32_e32 vcc_lo, s3, v1
	s_delay_alu instid0(VALU_DEP_2) | instskip(NEXT) | instid1(VALU_DEP_1)
	v_cndmask_b32_e32 v1, v1, v2, vcc_lo
	v_xor_b32_e32 v1, v1, v0
	s_delay_alu instid0(VALU_DEP_1) | instskip(NEXT) | instid1(VALU_DEP_1)
	v_sub_nc_u32_e32 v0, v1, v0
	v_cmpx_eq_u32_e32 0, v0
	s_cbranch_execz .LBB1_12
; %bb.1:
	s_clause 0x1
	s_load_b128 s[8:11], s[0:1], 0x0
	s_load_b64 s[2:3], s[0:1], 0x10
	s_mov_b32 s4, exec_lo
	s_delay_alu instid0(SALU_CYCLE_1)
	v_mbcnt_lo_u32_b32 v0, s4, 0
	s_wait_xcnt 0x0
	s_bcnt1_i32_b32 s0, s4
	s_wait_kmcnt 0x0
	s_clause 0x1
	global_load_b32 v2, v0, s[10:11] scale_offset
	global_load_b32 v1, v0, s[8:9] scale_offset
	v_cvt_f32_ubyte0_e32 v3, s0
	s_sub_co_i32 s5, 0, s0
	s_delay_alu instid0(VALU_DEP_1) | instskip(SKIP_1) | instid1(TRANS32_DEP_1)
	v_rcp_iflag_f32_e32 v3, v3
	v_nop
	v_readfirstlane_b32 s1, v3
	s_mul_f32 s1, s1, 0x4f7ffffe
	s_delay_alu instid0(SALU_CYCLE_3) | instskip(NEXT) | instid1(SALU_CYCLE_3)
	s_cvt_u32_f32 s1, s1
	s_mul_i32 s5, s5, s1
	s_delay_alu instid0(SALU_CYCLE_1) | instskip(NEXT) | instid1(SALU_CYCLE_1)
	s_mul_hi_u32 s5, s1, s5
	s_add_co_i32 s1, s1, s5
	s_cmp_eq_u32 s4, -1
	s_wait_loadcnt 0x1
	v_sub_nc_u32_e32 v3, 0, v2
	s_delay_alu instid0(VALU_DEP_1) | instskip(NEXT) | instid1(VALU_DEP_1)
	v_dual_ashrrev_i32 v2, 31, v2 :: v_dual_max_i32 v3, v2, v3
	v_mul_hi_u32 v4, v3, s1
	s_delay_alu instid0(VALU_DEP_1) | instskip(NEXT) | instid1(VALU_DEP_1)
	v_mul_lo_u32 v4, v4, s0
	v_sub_nc_u32_e32 v3, v3, v4
	s_delay_alu instid0(VALU_DEP_1) | instskip(SKIP_1) | instid1(VALU_DEP_2)
	v_subrev_nc_u32_e32 v4, s0, v3
	v_cmp_le_u32_e32 vcc_lo, s0, v3
	v_cndmask_b32_e32 v3, v3, v4, vcc_lo
	s_delay_alu instid0(VALU_DEP_1) | instskip(SKIP_1) | instid1(VALU_DEP_2)
	v_subrev_nc_u32_e32 v4, s0, v3
	v_cmp_le_u32_e32 vcc_lo, s0, v3
	v_cndmask_b32_e32 v3, v3, v4, vcc_lo
	s_delay_alu instid0(VALU_DEP_1) | instskip(NEXT) | instid1(VALU_DEP_1)
	v_xor_b32_e32 v3, v3, v2
	v_sub_nc_u32_e32 v2, v3, v2
	s_cbranch_scc1 .LBB1_11
; %bb.2:
	s_delay_alu instid0(VALU_DEP_1) | instskip(SKIP_3) | instid1(SALU_CYCLE_1)
	v_add_co_u32 v3, s0, v2, 1
	s_xor_b32 s0, s0, -1
                                        ; implicit-def: $vgpr4
                                        ; implicit-def: $vgpr5
	s_wait_xcnt 0x0
	s_and_saveexec_b32 s1, s0
	s_xor_b32 s0, exec_lo, s1
	s_cbranch_execz .LBB1_6
; %bb.3:
	v_dual_mov_b32 v4, 0 :: v_dual_mov_b32 v5, s4
	s_mov_b32 s1, exec_lo
	v_cmpx_gt_i32_e32 -1, v2
; %bb.4:
	s_brev_b32 s5, s4
	v_not_b32_e32 v3, v2
	v_dual_mov_b32 v4, 31 :: v_dual_mov_b32 v5, s5
; %bb.5:
	s_or_b32 exec_lo, exec_lo, s1
.LBB1_6:
	s_and_not1_saveexec_b32 s0, s0
; %bb.7:
	s_and_b32 s1, s4, 1
	v_dual_mov_b32 v4, 0 :: v_dual_mov_b32 v3, 1
	v_mov_b32_e32 v5, s1
; %bb.8:
	s_or_b32 exec_lo, exec_lo, s0
	s_delay_alu instid0(VALU_DEP_2) | instskip(SKIP_1) | instid1(VALU_DEP_1)
	v_lshlrev_b32_e64 v4, v4, -1
	s_mov_b32 s4, exec_lo
	v_dual_mov_b32 v5, -1 :: v_dual_bitop2_b32 v4, v4, v5 bitop3:0x40
	s_delay_alu instid0(VALU_DEP_1) | instskip(NEXT) | instid1(VALU_DEP_1)
	v_bcnt_u32_b32 v6, v4, 0
	v_cmpx_ge_u32_e64 v6, v3
	s_cbranch_execz .LBB1_10
; %bb.9:
	v_and_b32_e32 v5, 0xffff, v4
	s_delay_alu instid0(VALU_DEP_1) | instskip(NEXT) | instid1(VALU_DEP_1)
	v_bcnt_u32_b32 v6, v5, 0
	v_cmp_lt_u32_e32 vcc_lo, v6, v3
	v_lshrrev_b32_e32 v4, 16, v4
	s_delay_alu instid0(VALU_DEP_1) | instskip(NEXT) | instid1(VALU_DEP_1)
	v_dual_cndmask_b32 v4, v5, v4 :: v_dual_cndmask_b32 v5, 0, v6
	v_sub_nc_u32_e32 v3, v3, v5
	s_delay_alu instid0(VALU_DEP_2) | instskip(NEXT) | instid1(VALU_DEP_1)
	v_and_b32_e32 v6, 0xff, v4
	v_bcnt_u32_b32 v5, v6, 0
	s_delay_alu instid0(VALU_DEP_1) | instskip(NEXT) | instid1(VALU_DEP_1)
	v_cmp_lt_i32_e64 s0, v5, v3
	v_dual_lshrrev_b32 v4, 8, v4 :: v_dual_cndmask_b32 v5, 0, v5, s0
	s_delay_alu instid0(VALU_DEP_1) | instskip(SKIP_1) | instid1(VALU_DEP_2)
	v_cndmask_b32_e64 v4, v6, v4, s0
	v_cndmask_b32_e64 v8, 0, 8, s0
	v_dual_sub_nc_u32 v3, v3, v5 :: v_dual_bitop2_b32 v6, 15, v4 bitop3:0x40
	v_lshrrev_b32_e32 v4, 4, v4
	s_delay_alu instid0(VALU_DEP_2) | instskip(NEXT) | instid1(VALU_DEP_1)
	v_bcnt_u32_b32 v5, v6, 0
	v_cmp_lt_i32_e64 s1, v5, v3
	s_delay_alu instid0(VALU_DEP_1) | instskip(NEXT) | instid1(VALU_DEP_1)
	v_dual_cndmask_b32 v4, v6, v4, s1 :: v_dual_cndmask_b32 v5, 0, v5, s1
	v_dual_sub_nc_u32 v3, v3, v5 :: v_dual_bitop2_b32 v6, 3, v4 bitop3:0x40
	s_delay_alu instid0(VALU_DEP_1) | instskip(SKIP_1) | instid1(VALU_DEP_2)
	v_bcnt_u32_b32 v5, v6, 0
	v_cndmask_b32_e64 v6, 0, 16, vcc_lo
	v_cmp_lt_i32_e32 vcc_lo, v5, v3
	s_delay_alu instid0(VALU_DEP_2) | instskip(NEXT) | instid1(VALU_DEP_1)
	v_dual_lshrrev_b32 v7, 2, v4 :: v_dual_bitop2_b32 v6, v8, v6 bitop3:0x54
	v_dual_cndmask_b32 v5, 0, v5 :: v_dual_cndmask_b32 v4, v4, v7
	v_cndmask_b32_e64 v7, 0, 4, s1
	v_cndmask_b32_e64 v8, 0, 2, vcc_lo
	s_delay_alu instid0(VALU_DEP_3) | instskip(NEXT) | instid1(VALU_DEP_2)
	v_dual_sub_nc_u32 v3, v3, v5 :: v_dual_bitop2_b32 v4, 1, v4 bitop3:0x40
	v_or3_b32 v5, v6, v7, v8
	s_delay_alu instid0(VALU_DEP_2) | instskip(SKIP_2) | instid1(VALU_DEP_2)
	v_cmp_lt_i32_e32 vcc_lo, v4, v3
	v_cndmask_b32_e64 v3, 0, 1, vcc_lo
	v_cmp_gt_i32_e32 vcc_lo, -1, v2
	v_or_b32_e32 v4, v5, v3
	v_bitop3_b32 v3, v5, 31, v3 bitop3:0x36
	s_delay_alu instid0(VALU_DEP_1)
	v_cndmask_b32_e32 v5, v4, v3, vcc_lo
.LBB1_10:
	s_or_b32 exec_lo, exec_lo, s4
	s_delay_alu instid0(VALU_DEP_1)
	v_mov_b32_e32 v2, v5
.LBB1_11:
	s_delay_alu instid0(VALU_DEP_1) | instskip(NEXT) | instid1(VALU_DEP_1)
	v_and_b32_e32 v2, 31, v2
	v_lshlrev_b32_e32 v2, 2, v2
	s_wait_loadcnt 0x0
	ds_bpermute_b32 v1, v2, v1
	s_wait_dscnt 0x0
	global_store_b32 v0, v1, s[2:3] scale_offset
.LBB1_12:
	s_endpgm
	.section	.rodata,"a",@progbits
	.p2align	6, 0x0
	.amdhsa_kernel _Z22kernel_shfl_any_to_anyPiS_S_i
		.amdhsa_group_segment_fixed_size 0
		.amdhsa_private_segment_fixed_size 0
		.amdhsa_kernarg_size 288
		.amdhsa_user_sgpr_count 2
		.amdhsa_user_sgpr_dispatch_ptr 0
		.amdhsa_user_sgpr_queue_ptr 0
		.amdhsa_user_sgpr_kernarg_segment_ptr 1
		.amdhsa_user_sgpr_dispatch_id 0
		.amdhsa_user_sgpr_kernarg_preload_length 0
		.amdhsa_user_sgpr_kernarg_preload_offset 0
		.amdhsa_user_sgpr_private_segment_size 0
		.amdhsa_wavefront_size32 1
		.amdhsa_uses_dynamic_stack 0
		.amdhsa_enable_private_segment 0
		.amdhsa_system_sgpr_workgroup_id_x 1
		.amdhsa_system_sgpr_workgroup_id_y 0
		.amdhsa_system_sgpr_workgroup_id_z 0
		.amdhsa_system_sgpr_workgroup_info 0
		.amdhsa_system_vgpr_workitem_id 0
		.amdhsa_next_free_vgpr 9
		.amdhsa_next_free_sgpr 12
		.amdhsa_named_barrier_count 0
		.amdhsa_reserve_vcc 1
		.amdhsa_float_round_mode_32 0
		.amdhsa_float_round_mode_16_64 0
		.amdhsa_float_denorm_mode_32 3
		.amdhsa_float_denorm_mode_16_64 3
		.amdhsa_fp16_overflow 0
		.amdhsa_memory_ordered 1
		.amdhsa_forward_progress 1
		.amdhsa_inst_pref_size 8
		.amdhsa_round_robin_scheduling 0
		.amdhsa_exception_fp_ieee_invalid_op 0
		.amdhsa_exception_fp_denorm_src 0
		.amdhsa_exception_fp_ieee_div_zero 0
		.amdhsa_exception_fp_ieee_overflow 0
		.amdhsa_exception_fp_ieee_underflow 0
		.amdhsa_exception_fp_ieee_inexact 0
		.amdhsa_exception_int_div_zero 0
	.end_amdhsa_kernel
	.text
.Lfunc_end1:
	.size	_Z22kernel_shfl_any_to_anyPiS_S_i, .Lfunc_end1-_Z22kernel_shfl_any_to_anyPiS_S_i
                                        ; -- End function
	.set _Z22kernel_shfl_any_to_anyPiS_S_i.num_vgpr, 9
	.set _Z22kernel_shfl_any_to_anyPiS_S_i.num_agpr, 0
	.set _Z22kernel_shfl_any_to_anyPiS_S_i.numbered_sgpr, 12
	.set _Z22kernel_shfl_any_to_anyPiS_S_i.num_named_barrier, 0
	.set _Z22kernel_shfl_any_to_anyPiS_S_i.private_seg_size, 0
	.set _Z22kernel_shfl_any_to_anyPiS_S_i.uses_vcc, 1
	.set _Z22kernel_shfl_any_to_anyPiS_S_i.uses_flat_scratch, 0
	.set _Z22kernel_shfl_any_to_anyPiS_S_i.has_dyn_sized_stack, 0
	.set _Z22kernel_shfl_any_to_anyPiS_S_i.has_recursion, 0
	.set _Z22kernel_shfl_any_to_anyPiS_S_i.has_indirect_call, 0
	.section	.AMDGPU.csdata,"",@progbits
; Kernel info:
; codeLenInByte = 976
; TotalNumSgprs: 14
; NumVgprs: 9
; ScratchSize: 0
; MemoryBound: 0
; FloatMode: 240
; IeeeMode: 1
; LDSByteSize: 0 bytes/workgroup (compile time only)
; SGPRBlocks: 0
; VGPRBlocks: 0
; NumSGPRsForWavesPerEU: 14
; NumVGPRsForWavesPerEU: 9
; NamedBarCnt: 0
; Occupancy: 16
; WaveLimiterHint : 0
; COMPUTE_PGM_RSRC2:SCRATCH_EN: 0
; COMPUTE_PGM_RSRC2:USER_SGPR: 2
; COMPUTE_PGM_RSRC2:TRAP_HANDLER: 0
; COMPUTE_PGM_RSRC2:TGID_X_EN: 1
; COMPUTE_PGM_RSRC2:TGID_Y_EN: 0
; COMPUTE_PGM_RSRC2:TGID_Z_EN: 0
; COMPUTE_PGM_RSRC2:TIDIG_COMP_CNT: 0
	.text
	.protected	_Z10filter_arrPiS_PKii  ; -- Begin function _Z10filter_arrPiS_PKii
	.globl	_Z10filter_arrPiS_PKii
	.p2align	8
	.type	_Z10filter_arrPiS_PKii,@function
_Z10filter_arrPiS_PKii:                 ; @_Z10filter_arrPiS_PKii
; %bb.0:
	s_clause 0x1
	s_load_b32 s2, s[0:1], 0x2c
	s_load_b32 s8, s[0:1], 0x18
	s_bfe_u32 s3, ttmp6, 0x4000c
	s_and_b32 s4, ttmp6, 15
	s_add_co_i32 s3, s3, 1
	s_getreg_b32 s5, hwreg(HW_REG_IB_STS2, 6, 4)
	s_mul_i32 s3, ttmp9, s3
	s_mov_b32 s9, 0
	s_add_co_i32 s4, s4, s3
	s_wait_kmcnt 0x0
	s_and_b32 s10, s2, 0xffff
	s_cmp_eq_u32 s5, 0
	s_cselect_b32 s2, ttmp9, s4
	s_delay_alu instid0(SALU_CYCLE_1) | instskip(SKIP_1) | instid1(VALU_DEP_1)
	v_mad_u32 v0, s2, s10, v0
	s_mov_b32 s2, exec_lo
	v_cmpx_gt_i32_e64 s8, v0
	s_cbranch_execz .LBB2_17
; %bb.1:
	s_add_nc_u64 s[12:13], s[0:1], 32
	v_mov_b32_e32 v1, 0
	s_load_b32 s11, s[12:13], 0x0
	s_clause 0x1
	s_load_b128 s[4:7], s[0:1], 0x0
	s_load_b64 s[2:3], s[0:1], 0x10
	s_wait_kmcnt 0x0
	s_mul_i32 s0, s11, s10
	s_branch .LBB2_4
.LBB2_2:                                ;   in Loop: Header=BB2_4 Depth=1
	s_lshl_b32 s10, s12, 2
	s_delay_alu instid0(SALU_CYCLE_1)
	v_mov_b32_e32 v5, s10
	ds_bpermute_b32 v4, v5, v4
	s_wait_dscnt 0x0
	v_add_nc_u32_e32 v3, v4, v3
	global_store_b32 v3, v2, s[4:5] scale_offset
.LBB2_3:                                ;   in Loop: Header=BB2_4 Depth=1
	s_wait_xcnt 0x0
	s_or_b32 exec_lo, exec_lo, s1
	v_add_nc_u32_e32 v0, s0, v0
	s_delay_alu instid0(VALU_DEP_1) | instskip(SKIP_1) | instid1(SALU_CYCLE_1)
	v_cmp_le_i32_e32 vcc_lo, s8, v0
	s_or_b32 s9, vcc_lo, s9
	s_and_not1_b32 exec_lo, exec_lo, s9
	s_cbranch_execz .LBB2_17
.LBB2_4:                                ; =>This Inner Loop Header: Depth=1
	global_load_b32 v2, v0, s[2:3] scale_offset
	s_mov_b32 s1, exec_lo
	s_wait_loadcnt 0x0
	s_wait_xcnt 0x0
	v_cmpx_lt_i32_e32 0, v2
	s_cbranch_execz .LBB2_3
; %bb.5:                                ;   in Loop: Header=BB2_4 Depth=1
	s_mov_b32 s10, exec_lo
	v_mov_b32_e32 v4, 0
	v_mbcnt_lo_u32_b32 v3, s10, 0
	s_mov_b32 s11, exec_lo
	s_delay_alu instid0(VALU_DEP_1)
	v_cmpx_eq_u32_e32 0, v3
	s_cbranch_execz .LBB2_9
; %bb.6:                                ;   in Loop: Header=BB2_4 Depth=1
	s_mov_b32 s14, exec_lo
	s_bcnt1_i32_b32 s12, s10
	v_mbcnt_lo_u32_b32 v4, s14, 0
	s_mov_b32 s13, exec_lo
                                        ; implicit-def: $vgpr5
	s_delay_alu instid0(VALU_DEP_1)
	v_cmpx_eq_u32_e32 0, v4
	s_cbranch_execz .LBB2_8
; %bb.7:                                ;   in Loop: Header=BB2_4 Depth=1
	s_bcnt1_i32_b32 s14, s14
	s_delay_alu instid0(SALU_CYCLE_1) | instskip(NEXT) | instid1(SALU_CYCLE_1)
	s_mul_i32 s14, s12, s14
	v_mov_b32_e32 v5, s14
	global_atomic_add_u32 v5, v1, v5, s[6:7] th:TH_ATOMIC_RETURN scope:SCOPE_DEV
.LBB2_8:                                ;   in Loop: Header=BB2_4 Depth=1
	s_wait_xcnt 0x0
	s_or_b32 exec_lo, exec_lo, s13
	s_wait_loadcnt 0x0
	v_readfirstlane_b32 s13, v5
	s_delay_alu instid0(VALU_DEP_1)
	v_mad_u32_u24 v4, s12, v4, s13
.LBB2_9:                                ;   in Loop: Header=BB2_4 Depth=1
	s_or_b32 exec_lo, exec_lo, s11
	s_cmp_lt_i32 s10, 0
	s_cbranch_scc1 .LBB2_13
; %bb.10:                               ;   in Loop: Header=BB2_4 Depth=1
	s_cmp_eq_u32 s10, 0
	s_mov_b32 s11, -1
	s_cbranch_scc0 .LBB2_12
; %bb.11:                               ;   in Loop: Header=BB2_4 Depth=1
	s_mov_b32 s11, 0
.LBB2_12:                               ;   in Loop: Header=BB2_4 Depth=1
	s_mov_b32 s12, 31
	s_branch .LBB2_15
.LBB2_13:                               ;   in Loop: Header=BB2_4 Depth=1
	s_mov_b32 s11, 0
	s_mov_b32 s12, 31
	s_cbranch_execz .LBB2_15
; %bb.14:                               ;   in Loop: Header=BB2_4 Depth=1
	s_cmp_lg_u32 s10, -1
	s_mov_b32 s12, 0
	s_cselect_b32 s11, -1, 0
.LBB2_15:                               ;   in Loop: Header=BB2_4 Depth=1
	s_delay_alu instid0(SALU_CYCLE_1)
	s_and_not1_b32 vcc_lo, exec_lo, s11
	s_cbranch_vccnz .LBB2_2
; %bb.16:                               ;   in Loop: Header=BB2_4 Depth=1
	s_and_b32 s11, s10, 0xffff
	s_lshr_b32 s10, s10, 16
	s_cmp_eq_u32 s11, 0
	s_cselect_b32 s10, s10, s11
	s_cselect_b32 s11, 16, 0
	s_and_b32 s12, s10, 0xff
	s_lshr_b32 s10, s10, 8
	s_cmp_eq_u32 s12, 0
	s_cselect_b32 s10, s10, s12
	s_cselect_b32 s13, 8, 0
	s_and_b32 s12, s10, 15
	s_or_b32 s11, s13, s11
	s_lshr_b32 s10, s10, 4
	s_cmp_eq_u32 s12, 0
	s_cselect_b32 s10, s10, s12
	s_cselect_b32 s13, 4, 0
	s_and_b32 s12, s10, 3
	s_or_b32 s11, s11, s13
	s_lshr_b32 s13, s10, 2
	s_cmp_eq_u32 s12, 0
	s_cselect_b32 s12, 2, 0
	s_cselect_b32 s10, s13, s10
	s_or_b32 s11, s11, s12
	s_and_b32 s10, s10, 1
	s_delay_alu instid0(SALU_CYCLE_1) | instskip(NEXT) | instid1(SALU_CYCLE_1)
	s_or_b32 s10, s11, s10
	s_xor_b32 s12, s10, 1
	s_branch .LBB2_2
.LBB2_17:
	s_endpgm
	.section	.rodata,"a",@progbits
	.p2align	6, 0x0
	.amdhsa_kernel _Z10filter_arrPiS_PKii
		.amdhsa_group_segment_fixed_size 0
		.amdhsa_private_segment_fixed_size 0
		.amdhsa_kernarg_size 288
		.amdhsa_user_sgpr_count 2
		.amdhsa_user_sgpr_dispatch_ptr 0
		.amdhsa_user_sgpr_queue_ptr 0
		.amdhsa_user_sgpr_kernarg_segment_ptr 1
		.amdhsa_user_sgpr_dispatch_id 0
		.amdhsa_user_sgpr_kernarg_preload_length 0
		.amdhsa_user_sgpr_kernarg_preload_offset 0
		.amdhsa_user_sgpr_private_segment_size 0
		.amdhsa_wavefront_size32 1
		.amdhsa_uses_dynamic_stack 0
		.amdhsa_enable_private_segment 0
		.amdhsa_system_sgpr_workgroup_id_x 1
		.amdhsa_system_sgpr_workgroup_id_y 0
		.amdhsa_system_sgpr_workgroup_id_z 0
		.amdhsa_system_sgpr_workgroup_info 0
		.amdhsa_system_vgpr_workitem_id 0
		.amdhsa_next_free_vgpr 6
		.amdhsa_next_free_sgpr 15
		.amdhsa_named_barrier_count 0
		.amdhsa_reserve_vcc 1
		.amdhsa_float_round_mode_32 0
		.amdhsa_float_round_mode_16_64 0
		.amdhsa_float_denorm_mode_32 3
		.amdhsa_float_denorm_mode_16_64 3
		.amdhsa_fp16_overflow 0
		.amdhsa_memory_ordered 1
		.amdhsa_forward_progress 1
		.amdhsa_inst_pref_size 5
		.amdhsa_round_robin_scheduling 0
		.amdhsa_exception_fp_ieee_invalid_op 0
		.amdhsa_exception_fp_denorm_src 0
		.amdhsa_exception_fp_ieee_div_zero 0
		.amdhsa_exception_fp_ieee_overflow 0
		.amdhsa_exception_fp_ieee_underflow 0
		.amdhsa_exception_fp_ieee_inexact 0
		.amdhsa_exception_int_div_zero 0
	.end_amdhsa_kernel
	.text
.Lfunc_end2:
	.size	_Z10filter_arrPiS_PKii, .Lfunc_end2-_Z10filter_arrPiS_PKii
                                        ; -- End function
	.set _Z10filter_arrPiS_PKii.num_vgpr, 6
	.set _Z10filter_arrPiS_PKii.num_agpr, 0
	.set _Z10filter_arrPiS_PKii.numbered_sgpr, 15
	.set _Z10filter_arrPiS_PKii.num_named_barrier, 0
	.set _Z10filter_arrPiS_PKii.private_seg_size, 0
	.set _Z10filter_arrPiS_PKii.uses_vcc, 1
	.set _Z10filter_arrPiS_PKii.uses_flat_scratch, 0
	.set _Z10filter_arrPiS_PKii.has_dyn_sized_stack, 0
	.set _Z10filter_arrPiS_PKii.has_recursion, 0
	.set _Z10filter_arrPiS_PKii.has_indirect_call, 0
	.section	.AMDGPU.csdata,"",@progbits
; Kernel info:
; codeLenInByte = 568
; TotalNumSgprs: 17
; NumVgprs: 6
; ScratchSize: 0
; MemoryBound: 0
; FloatMode: 240
; IeeeMode: 1
; LDSByteSize: 0 bytes/workgroup (compile time only)
; SGPRBlocks: 0
; VGPRBlocks: 0
; NumSGPRsForWavesPerEU: 17
; NumVGPRsForWavesPerEU: 6
; NamedBarCnt: 0
; Occupancy: 16
; WaveLimiterHint : 0
; COMPUTE_PGM_RSRC2:SCRATCH_EN: 0
; COMPUTE_PGM_RSRC2:USER_SGPR: 2
; COMPUTE_PGM_RSRC2:TRAP_HANDLER: 0
; COMPUTE_PGM_RSRC2:TGID_X_EN: 1
; COMPUTE_PGM_RSRC2:TGID_Y_EN: 0
; COMPUTE_PGM_RSRC2:TGID_Z_EN: 0
; COMPUTE_PGM_RSRC2:TIDIG_COMP_CNT: 0
	.text
	.protected	_Z35kernel_cg_coalesced_group_partitionjPibS_i ; -- Begin function _Z35kernel_cg_coalesced_group_partitionjPibS_i
	.globl	_Z35kernel_cg_coalesced_group_partitionjPibS_i
	.p2align	8
	.type	_Z35kernel_cg_coalesced_group_partitionjPibS_i,@function
_Z35kernel_cg_coalesced_group_partitionjPibS_i: ; @_Z35kernel_cg_coalesced_group_partitionjPibS_i
; %bb.0:
	s_clause 0x1
	s_load_b32 s2, s[0:1], 0x34
	s_load_b32 s3, s[0:1], 0x20
	s_bfe_u32 s4, ttmp6, 0x4000c
	s_and_b32 s5, ttmp6, 15
	s_add_co_i32 s4, s4, 1
	s_getreg_b32 s6, hwreg(HW_REG_IB_STS2, 6, 4)
	s_mul_i32 s4, ttmp9, s4
	s_delay_alu instid0(SALU_CYCLE_1)
	s_add_co_i32 s5, s5, s4
	s_wait_kmcnt 0x0
	s_and_b32 s2, s2, 0xffff
	s_cmp_eq_u32 s6, 0
	s_cselect_b32 s4, ttmp9, s5
	s_abs_i32 s3, s3
	v_mad_u32 v0, s4, s2, v0
	s_cvt_f32_u32 s5, s3
	s_sub_co_i32 s4, 0, s3
	s_delay_alu instid0(SALU_CYCLE_2) | instskip(SKIP_1) | instid1(TRANS32_DEP_1)
	v_rcp_iflag_f32_e32 v1, s5
	v_nop
	v_readfirstlane_b32 s2, v1
	s_delay_alu instid0(VALU_DEP_3) | instskip(SKIP_1) | instid1(VALU_DEP_1)
	v_sub_nc_u32_e32 v1, 0, v0
	s_mul_f32 s2, s2, 0x4f7ffffe
	v_dual_ashrrev_i32 v0, 31, v0 :: v_dual_max_i32 v1, v0, v1
	s_delay_alu instid0(SALU_CYCLE_2) | instskip(NEXT) | instid1(SALU_CYCLE_3)
	s_cvt_u32_f32 s2, s2
	s_mul_i32 s4, s4, s2
	s_delay_alu instid0(SALU_CYCLE_1) | instskip(NEXT) | instid1(SALU_CYCLE_1)
	s_mul_hi_u32 s4, s2, s4
	s_add_co_i32 s2, s2, s4
	s_delay_alu instid0(SALU_CYCLE_1) | instskip(SKIP_1) | instid1(VALU_DEP_1)
	v_mul_hi_u32 v2, v1, s2
	s_mov_b32 s2, exec_lo
	v_mul_lo_u32 v2, v2, s3
	s_delay_alu instid0(VALU_DEP_1) | instskip(NEXT) | instid1(VALU_DEP_1)
	v_sub_nc_u32_e32 v1, v1, v2
	v_subrev_nc_u32_e32 v2, s3, v1
	v_cmp_le_u32_e32 vcc_lo, s3, v1
	s_delay_alu instid0(VALU_DEP_2) | instskip(NEXT) | instid1(VALU_DEP_1)
	v_cndmask_b32_e32 v1, v1, v2, vcc_lo
	v_subrev_nc_u32_e32 v2, s3, v1
	v_cmp_le_u32_e32 vcc_lo, s3, v1
	s_delay_alu instid0(VALU_DEP_2) | instskip(NEXT) | instid1(VALU_DEP_1)
	v_cndmask_b32_e32 v1, v1, v2, vcc_lo
	v_xor_b32_e32 v1, v1, v0
	s_delay_alu instid0(VALU_DEP_1) | instskip(NEXT) | instid1(VALU_DEP_1)
	v_sub_nc_u32_e32 v0, v1, v0
	v_cmpx_eq_u32_e32 0, v0
	s_cbranch_execz .LBB3_685
; %bb.1:
	s_clause 0x1
	s_load_b32 s2, s[0:1], 0x10
	s_load_b64 s[6:7], s[0:1], 0x18
	v_mbcnt_lo_u32_b32 v36, exec_lo, 0
	s_bcnt1_i32_b32 s8, exec_lo
	s_mov_b64 s[4:5], src_shared_base
	s_mov_b32 s3, 0
	s_mov_b32 s10, exec_lo
	v_mov_b32_e32 v34, v36
	s_mov_b32 s11, s3
	s_wait_kmcnt 0x0
	s_and_b32 s2, 1, s2
	s_cmp_lg_u32 0, -1
	s_cselect_b32 s4, 0, 0
	s_cselect_b32 s5, s5, 0
	s_cmp_eq_u32 s2, 1
	s_cselect_b32 s7, s7, s5
	s_cselect_b32 s6, s6, s4
	s_cmp_lt_u32 s8, 2
	s_cbranch_scc1 .LBB3_7
; %bb.2:
	v_dual_mov_b32 v1, 0 :: v_dual_lshlrev_b32 v0, 2, v36
	v_mov_b32_e32 v34, v36
	s_mov_b32 s4, s8
	s_delay_alu instid0(VALU_DEP_2)
	v_add_nc_u64_e32 v[0:1], s[6:7], v[0:1]
.LBB3_3:                                ; =>This Inner Loop Header: Depth=1
	s_lshr_b32 s2, s4, 1
	s_mov_b32 s5, exec_lo
	flat_store_b32 v[0:1], v34
	global_wb scope:SCOPE_DEV
	s_wait_storecnt_dscnt 0x0
	global_inv scope:SCOPE_DEV
	s_wait_xcnt 0x0
	v_cmpx_gt_i32_e64 s2, v36
	s_cbranch_execz .LBB3_5
; %bb.4:                                ;   in Loop: Header=BB3_3 Depth=1
	v_lshl_add_u64 v[2:3], s[2:3], 2, v[0:1]
	flat_load_b32 v2, v[2:3]
	s_wait_loadcnt_dscnt 0x0
	v_add_nc_u32_e32 v34, v2, v34
.LBB3_5:                                ;   in Loop: Header=BB3_3 Depth=1
	s_wait_xcnt 0x0
	s_or_b32 exec_lo, exec_lo, s5
	s_cmp_gt_u32 s4, 3
	global_wb scope:SCOPE_DEV
	s_wait_loadcnt 0x0
	s_wait_storecnt 0x0
	global_inv scope:SCOPE_DEV
	s_cbranch_scc0 .LBB3_7
; %bb.6:                                ;   in Loop: Header=BB3_3 Depth=1
	s_mov_b32 s4, s2
	s_branch .LBB3_3
.LBB3_7:
	s_load_b32 s26, s[0:1], 0x0
	v_cmp_eq_u32_e64 s2, 0, v36
	s_add_nc_u64 s[4:5], s[0:1], 40
	s_and_saveexec_b32 s27, s2
	s_cbranch_execz .LBB3_376
; %bb.8:
	s_load_b64 s[12:13], s[4:5], 0x50
	v_mbcnt_lo_u32_b32 v29, -1, 0
	v_mov_b64_e32 v[2:3], 0
	s_delay_alu instid0(VALU_DEP_2) | instskip(NEXT) | instid1(VALU_DEP_1)
	v_readfirstlane_b32 s3, v29
	v_cmp_eq_u32_e64 s3, s3, v29
	s_and_saveexec_b32 s9, s3
	s_cbranch_execz .LBB3_14
; %bb.9:
	v_mov_b32_e32 v0, 0
	s_mov_b32 s14, exec_lo
	s_wait_kmcnt 0x0
	global_load_b64 v[4:5], v0, s[12:13] offset:24 scope:SCOPE_SYS
	s_wait_loadcnt 0x0
	global_inv scope:SCOPE_SYS
	s_clause 0x1
	global_load_b64 v[2:3], v0, s[12:13] offset:40
	global_load_b64 v[6:7], v0, s[12:13]
	s_wait_loadcnt 0x1
	v_and_b32_e32 v2, v2, v4
	v_and_b32_e32 v3, v3, v5
	s_delay_alu instid0(VALU_DEP_1) | instskip(SKIP_1) | instid1(VALU_DEP_1)
	v_mul_u64_e32 v[2:3], 24, v[2:3]
	s_wait_loadcnt 0x0
	v_add_nc_u64_e32 v[2:3], v[6:7], v[2:3]
	global_load_b64 v[2:3], v[2:3], off scope:SCOPE_SYS
	s_wait_xcnt 0x0
	s_wait_loadcnt 0x0
	global_atomic_cmpswap_b64 v[2:3], v0, v[2:5], s[12:13] offset:24 th:TH_ATOMIC_RETURN scope:SCOPE_SYS
	s_wait_loadcnt 0x0
	global_inv scope:SCOPE_SYS
	s_wait_xcnt 0x0
	v_cmpx_ne_u64_e64 v[2:3], v[4:5]
	s_cbranch_execz .LBB3_13
; %bb.10:
	s_mov_b32 s15, 0
.LBB3_11:                               ; =>This Inner Loop Header: Depth=1
	s_sleep 1
	s_clause 0x1
	global_load_b64 v[6:7], v0, s[12:13] offset:40
	global_load_b64 v[8:9], v0, s[12:13]
	v_mov_b64_e32 v[4:5], v[2:3]
	s_wait_loadcnt 0x1
	s_delay_alu instid0(VALU_DEP_1) | instskip(SKIP_1) | instid1(VALU_DEP_1)
	v_and_b32_e32 v1, v6, v4
	s_wait_loadcnt 0x0
	v_mad_nc_u64_u32 v[2:3], v1, 24, v[8:9]
	s_delay_alu instid0(VALU_DEP_3) | instskip(NEXT) | instid1(VALU_DEP_1)
	v_and_b32_e32 v1, v7, v5
	v_mad_u32 v3, v1, 24, v3
	global_load_b64 v[2:3], v[2:3], off scope:SCOPE_SYS
	s_wait_xcnt 0x0
	s_wait_loadcnt 0x0
	global_atomic_cmpswap_b64 v[2:3], v0, v[2:5], s[12:13] offset:24 th:TH_ATOMIC_RETURN scope:SCOPE_SYS
	s_wait_loadcnt 0x0
	global_inv scope:SCOPE_SYS
	v_cmp_eq_u64_e32 vcc_lo, v[2:3], v[4:5]
	s_or_b32 s15, vcc_lo, s15
	s_wait_xcnt 0x0
	s_and_not1_b32 exec_lo, exec_lo, s15
	s_cbranch_execnz .LBB3_11
; %bb.12:
	s_or_b32 exec_lo, exec_lo, s15
.LBB3_13:
	s_delay_alu instid0(SALU_CYCLE_1)
	s_or_b32 exec_lo, exec_lo, s14
.LBB3_14:
	s_delay_alu instid0(SALU_CYCLE_1)
	s_or_b32 exec_lo, exec_lo, s9
	v_readfirstlane_b32 s14, v2
	v_mov_b32_e32 v1, 0
	v_readfirstlane_b32 s15, v3
	s_mov_b32 s9, exec_lo
	s_wait_kmcnt 0x0
	s_clause 0x1
	global_load_b64 v[8:9], v1, s[12:13] offset:40
	global_load_b128 v[4:7], v1, s[12:13]
	s_wait_loadcnt 0x1
	v_and_b32_e32 v10, s14, v8
	v_and_b32_e32 v11, s15, v9
	s_delay_alu instid0(VALU_DEP_1) | instskip(SKIP_1) | instid1(VALU_DEP_1)
	v_mul_u64_e32 v[2:3], 24, v[10:11]
	s_wait_loadcnt 0x0
	v_add_nc_u64_e32 v[8:9], v[4:5], v[2:3]
	s_and_saveexec_b32 s16, s3
	s_cbranch_execz .LBB3_16
; %bb.15:
	v_mov_b64_e32 v[2:3], 0x100000002
	v_mov_b32_e32 v0, s9
	global_store_b128 v[8:9], v[0:3], off offset:8
.LBB3_16:
	s_wait_xcnt 0x0
	s_or_b32 exec_lo, exec_lo, s16
	v_lshlrev_b64_e32 v[2:3], 12, v[10:11]
	s_mov_b32 s16, 0
	v_dual_lshlrev_b32 v0, 6, v29 :: v_dual_mov_b32 v10, 33
	s_mov_b32 s17, s16
	s_mov_b32 s18, s16
	;; [unrolled: 1-line block ×3, first 2 shown]
	s_delay_alu instid0(VALU_DEP_2)
	v_add_nc_u64_e32 v[6:7], v[6:7], v[2:3]
	v_mov_b64_e32 v[14:15], s[16:17]
	v_mov_b64_e32 v[16:17], s[18:19]
	v_dual_mov_b32 v11, v1 :: v_dual_mov_b32 v12, v1
	v_mov_b32_e32 v13, v1
	v_readfirstlane_b32 s20, v6
	v_readfirstlane_b32 s21, v7
	s_clause 0x3
	global_store_b128 v0, v[10:13], s[20:21]
	global_store_b128 v0, v[14:17], s[20:21] offset:16
	global_store_b128 v0, v[14:17], s[20:21] offset:32
	;; [unrolled: 1-line block ×3, first 2 shown]
	s_wait_xcnt 0x0
	s_and_saveexec_b32 s9, s3
	s_cbranch_execz .LBB3_24
; %bb.17:
	v_dual_mov_b32 v12, 0 :: v_dual_mov_b32 v15, s15
	s_mov_b32 s16, exec_lo
	s_clause 0x1
	global_load_b64 v[16:17], v12, s[12:13] offset:32 scope:SCOPE_SYS
	global_load_b64 v[2:3], v12, s[12:13] offset:40
	s_wait_loadcnt 0x0
	v_dual_mov_b32 v14, s14 :: v_dual_bitop2_b32 v3, s15, v3 bitop3:0x40
	v_and_b32_e32 v2, s14, v2
	s_delay_alu instid0(VALU_DEP_1) | instskip(NEXT) | instid1(VALU_DEP_1)
	v_mul_u64_e32 v[2:3], 24, v[2:3]
	v_add_nc_u64_e32 v[10:11], v[4:5], v[2:3]
	global_store_b64 v[10:11], v[16:17], off
	global_wb scope:SCOPE_SYS
	s_wait_storecnt 0x0
	s_wait_xcnt 0x0
	global_atomic_cmpswap_b64 v[4:5], v12, v[14:17], s[12:13] offset:32 th:TH_ATOMIC_RETURN scope:SCOPE_SYS
	s_wait_loadcnt 0x0
	v_cmpx_ne_u64_e64 v[4:5], v[16:17]
	s_cbranch_execz .LBB3_20
; %bb.18:
	s_mov_b32 s17, 0
.LBB3_19:                               ; =>This Inner Loop Header: Depth=1
	v_dual_mov_b32 v2, s14 :: v_dual_mov_b32 v3, s15
	s_sleep 1
	global_store_b64 v[10:11], v[4:5], off
	global_wb scope:SCOPE_SYS
	s_wait_storecnt 0x0
	s_wait_xcnt 0x0
	global_atomic_cmpswap_b64 v[2:3], v12, v[2:5], s[12:13] offset:32 th:TH_ATOMIC_RETURN scope:SCOPE_SYS
	s_wait_loadcnt 0x0
	v_cmp_eq_u64_e32 vcc_lo, v[2:3], v[4:5]
	v_mov_b64_e32 v[4:5], v[2:3]
	s_or_b32 s17, vcc_lo, s17
	s_delay_alu instid0(SALU_CYCLE_1)
	s_and_not1_b32 exec_lo, exec_lo, s17
	s_cbranch_execnz .LBB3_19
.LBB3_20:
	s_or_b32 exec_lo, exec_lo, s16
	v_mov_b32_e32 v5, 0
	s_mov_b32 s17, exec_lo
	s_mov_b32 s16, exec_lo
	v_mbcnt_lo_u32_b32 v4, s17, 0
	global_load_b64 v[2:3], v5, s[12:13] offset:16
	s_wait_xcnt 0x0
	v_cmpx_eq_u32_e32 0, v4
	s_cbranch_execz .LBB3_22
; %bb.21:
	s_bcnt1_i32_b32 s17, s17
	s_delay_alu instid0(SALU_CYCLE_1)
	v_mov_b32_e32 v4, s17
	global_wb scope:SCOPE_SYS
	s_wait_loadcnt 0x0
	s_wait_storecnt 0x0
	global_atomic_add_u64 v[2:3], v[4:5], off offset:8 scope:SCOPE_SYS
.LBB3_22:
	s_wait_xcnt 0x0
	s_or_b32 exec_lo, exec_lo, s16
	s_wait_loadcnt 0x0
	global_load_b64 v[4:5], v[2:3], off offset:16
	s_wait_loadcnt 0x0
	v_cmp_eq_u64_e32 vcc_lo, 0, v[4:5]
	s_cbranch_vccnz .LBB3_24
; %bb.23:
	global_load_b32 v2, v[2:3], off offset:24
	s_wait_xcnt 0x0
	v_mov_b32_e32 v3, 0
	s_wait_loadcnt 0x0
	v_readfirstlane_b32 s16, v2
	global_wb scope:SCOPE_SYS
	s_wait_storecnt 0x0
	global_store_b64 v[4:5], v[2:3], off scope:SCOPE_SYS
	s_and_b32 m0, s16, 0xffffff
	s_sendmsg sendmsg(MSG_INTERRUPT)
.LBB3_24:
	s_wait_xcnt 0x0
	s_or_b32 exec_lo, exec_lo, s9
	v_add_nc_u64_e32 v[2:3], v[6:7], v[0:1]
	s_branch .LBB3_28
.LBB3_25:                               ;   in Loop: Header=BB3_28 Depth=1
	s_wait_xcnt 0x0
	s_or_b32 exec_lo, exec_lo, s9
	s_delay_alu instid0(VALU_DEP_1)
	v_readfirstlane_b32 s9, v1
	s_cmp_eq_u32 s9, 0
	s_cbranch_scc1 .LBB3_27
; %bb.26:                               ;   in Loop: Header=BB3_28 Depth=1
	s_sleep 1
	s_cbranch_execnz .LBB3_28
	s_branch .LBB3_30
.LBB3_27:
	s_branch .LBB3_30
.LBB3_28:                               ; =>This Inner Loop Header: Depth=1
	v_mov_b32_e32 v1, 1
	s_and_saveexec_b32 s9, s3
	s_cbranch_execz .LBB3_25
; %bb.29:                               ;   in Loop: Header=BB3_28 Depth=1
	global_load_b32 v1, v[8:9], off offset:20 scope:SCOPE_SYS
	s_wait_loadcnt 0x0
	global_inv scope:SCOPE_SYS
	v_and_b32_e32 v1, 1, v1
	s_branch .LBB3_25
.LBB3_30:
	global_load_b64 v[2:3], v[2:3], off
	s_wait_xcnt 0x0
	s_and_saveexec_b32 s9, s3
	s_cbranch_execz .LBB3_34
; %bb.31:
	v_mov_b32_e32 v1, 0
	s_clause 0x2
	global_load_b64 v[4:5], v1, s[12:13] offset:40
	global_load_b64 v[12:13], v1, s[12:13] offset:24 scope:SCOPE_SYS
	global_load_b64 v[6:7], v1, s[12:13]
	s_wait_loadcnt 0x2
	v_readfirstlane_b32 s16, v4
	v_readfirstlane_b32 s17, v5
	s_add_nc_u64 s[18:19], s[16:17], 1
	s_delay_alu instid0(SALU_CYCLE_1) | instskip(NEXT) | instid1(SALU_CYCLE_1)
	s_add_nc_u64 s[14:15], s[18:19], s[14:15]
	s_cmp_eq_u64 s[14:15], 0
	s_cselect_b32 s15, s19, s15
	s_cselect_b32 s14, s18, s14
	v_mov_b32_e32 v11, s15
	s_and_b64 s[16:17], s[14:15], s[16:17]
	v_mov_b32_e32 v10, s14
	s_mul_u64 s[16:17], s[16:17], 24
	s_wait_loadcnt 0x0
	v_add_nc_u64_e32 v[8:9], s[16:17], v[6:7]
	global_store_b64 v[8:9], v[12:13], off
	global_wb scope:SCOPE_SYS
	s_wait_storecnt 0x0
	s_wait_xcnt 0x0
	global_atomic_cmpswap_b64 v[6:7], v1, v[10:13], s[12:13] offset:24 th:TH_ATOMIC_RETURN scope:SCOPE_SYS
	s_wait_loadcnt 0x0
	v_cmp_ne_u64_e32 vcc_lo, v[6:7], v[12:13]
	s_and_b32 exec_lo, exec_lo, vcc_lo
	s_cbranch_execz .LBB3_34
; %bb.32:
	s_mov_b32 s3, 0
.LBB3_33:                               ; =>This Inner Loop Header: Depth=1
	v_dual_mov_b32 v4, s14 :: v_dual_mov_b32 v5, s15
	s_sleep 1
	global_store_b64 v[8:9], v[6:7], off
	global_wb scope:SCOPE_SYS
	s_wait_storecnt 0x0
	s_wait_xcnt 0x0
	global_atomic_cmpswap_b64 v[4:5], v1, v[4:7], s[12:13] offset:24 th:TH_ATOMIC_RETURN scope:SCOPE_SYS
	s_wait_loadcnt 0x0
	v_cmp_eq_u64_e32 vcc_lo, v[4:5], v[6:7]
	v_mov_b64_e32 v[6:7], v[4:5]
	s_or_b32 s3, vcc_lo, s3
	s_delay_alu instid0(SALU_CYCLE_1)
	s_and_not1_b32 exec_lo, exec_lo, s3
	s_cbranch_execnz .LBB3_33
.LBB3_34:
	s_or_b32 exec_lo, exec_lo, s9
	s_get_pc_i64 s[14:15]
	s_add_nc_u64 s[14:15], s[14:15], .str@rel64+4
	s_delay_alu instid0(SALU_CYCLE_1)
	s_cmp_lg_u64 s[14:15], 0
	s_cbranch_scc0 .LBB3_113
; %bb.35:
	v_mov_b64_e32 v[10:11], 0x100000002
	s_wait_loadcnt 0x0
	v_dual_mov_b32 v9, 0 :: v_dual_bitop2_b32 v28, 2, v2 bitop3:0x40
	v_dual_mov_b32 v5, v3 :: v_dual_bitop2_b32 v4, -3, v2 bitop3:0x40
	s_mov_b64 s[16:17], 51
	s_branch .LBB3_37
.LBB3_36:                               ;   in Loop: Header=BB3_37 Depth=1
	s_or_b32 exec_lo, exec_lo, s9
	s_sub_nc_u64 s[16:17], s[16:17], s[18:19]
	s_add_nc_u64 s[14:15], s[14:15], s[18:19]
	s_cmp_lg_u64 s[16:17], 0
	s_cbranch_scc0 .LBB3_112
.LBB3_37:                               ; =>This Loop Header: Depth=1
                                        ;     Child Loop BB3_40 Depth 2
                                        ;     Child Loop BB3_47 Depth 2
	;; [unrolled: 1-line block ×11, first 2 shown]
	v_min_u64 v[6:7], s[16:17], 56
	v_cmp_gt_u64_e64 s3, s[16:17], 7
	s_and_b32 vcc_lo, exec_lo, s3
	v_readfirstlane_b32 s18, v6
	v_readfirstlane_b32 s19, v7
	s_cbranch_vccnz .LBB3_42
; %bb.38:                               ;   in Loop: Header=BB3_37 Depth=1
	v_mov_b64_e32 v[6:7], 0
	s_cmp_eq_u64 s[16:17], 0
	s_cbranch_scc1 .LBB3_41
; %bb.39:                               ;   in Loop: Header=BB3_37 Depth=1
	s_mov_b64 s[20:21], 0
	s_mov_b64 s[22:23], 0
.LBB3_40:                               ;   Parent Loop BB3_37 Depth=1
                                        ; =>  This Inner Loop Header: Depth=2
	s_wait_xcnt 0x0
	s_add_nc_u64 s[24:25], s[14:15], s[22:23]
	s_add_nc_u64 s[22:23], s[22:23], 1
	global_load_u8 v1, v9, s[24:25]
	s_cmp_lg_u32 s18, s22
	s_wait_loadcnt 0x0
	v_and_b32_e32 v8, 0xffff, v1
	s_delay_alu instid0(VALU_DEP_1) | instskip(SKIP_1) | instid1(VALU_DEP_1)
	v_lshlrev_b64_e32 v[12:13], s20, v[8:9]
	s_add_nc_u64 s[20:21], s[20:21], 8
	v_or_b32_e32 v6, v12, v6
	s_delay_alu instid0(VALU_DEP_2)
	v_or_b32_e32 v7, v13, v7
	s_cbranch_scc1 .LBB3_40
.LBB3_41:                               ;   in Loop: Header=BB3_37 Depth=1
	s_mov_b64 s[22:23], s[14:15]
	s_mov_b32 s3, 0
	s_cbranch_execz .LBB3_43
	s_branch .LBB3_44
.LBB3_42:                               ;   in Loop: Header=BB3_37 Depth=1
	s_add_nc_u64 s[22:23], s[14:15], 8
                                        ; kill: def $vgpr6_vgpr7 killed $sgpr0_sgpr1 killed $exec
	s_mov_b32 s3, 0
.LBB3_43:                               ;   in Loop: Header=BB3_37 Depth=1
	global_load_b64 v[6:7], v9, s[14:15]
	s_add_co_i32 s3, s18, -8
.LBB3_44:                               ;   in Loop: Header=BB3_37 Depth=1
	s_delay_alu instid0(SALU_CYCLE_1)
	s_cmp_gt_u32 s3, 7
	s_cbranch_scc1 .LBB3_49
; %bb.45:                               ;   in Loop: Header=BB3_37 Depth=1
	v_mov_b64_e32 v[12:13], 0
	s_cmp_eq_u32 s3, 0
	s_cbranch_scc1 .LBB3_48
; %bb.46:                               ;   in Loop: Header=BB3_37 Depth=1
	s_mov_b64 s[20:21], 0
	s_wait_xcnt 0x0
	s_mov_b64 s[24:25], 0
.LBB3_47:                               ;   Parent Loop BB3_37 Depth=1
                                        ; =>  This Inner Loop Header: Depth=2
	s_wait_xcnt 0x0
	s_add_nc_u64 s[28:29], s[22:23], s[24:25]
	s_add_nc_u64 s[24:25], s[24:25], 1
	global_load_u8 v1, v9, s[28:29]
	s_cmp_lg_u32 s3, s24
	s_wait_loadcnt 0x0
	v_and_b32_e32 v8, 0xffff, v1
	s_delay_alu instid0(VALU_DEP_1) | instskip(SKIP_1) | instid1(VALU_DEP_1)
	v_lshlrev_b64_e32 v[14:15], s20, v[8:9]
	s_add_nc_u64 s[20:21], s[20:21], 8
	v_or_b32_e32 v12, v14, v12
	s_delay_alu instid0(VALU_DEP_2)
	v_or_b32_e32 v13, v15, v13
	s_cbranch_scc1 .LBB3_47
.LBB3_48:                               ;   in Loop: Header=BB3_37 Depth=1
	s_mov_b64 s[20:21], s[22:23]
	s_mov_b32 s9, 0
	s_cbranch_execz .LBB3_50
	s_branch .LBB3_51
.LBB3_49:                               ;   in Loop: Header=BB3_37 Depth=1
	s_add_nc_u64 s[20:21], s[22:23], 8
                                        ; implicit-def: $vgpr12_vgpr13
	s_mov_b32 s9, 0
.LBB3_50:                               ;   in Loop: Header=BB3_37 Depth=1
	global_load_b64 v[12:13], v9, s[22:23]
	s_add_co_i32 s9, s3, -8
.LBB3_51:                               ;   in Loop: Header=BB3_37 Depth=1
	s_delay_alu instid0(SALU_CYCLE_1)
	s_cmp_gt_u32 s9, 7
	s_cbranch_scc1 .LBB3_56
; %bb.52:                               ;   in Loop: Header=BB3_37 Depth=1
	v_mov_b64_e32 v[14:15], 0
	s_cmp_eq_u32 s9, 0
	s_cbranch_scc1 .LBB3_55
; %bb.53:                               ;   in Loop: Header=BB3_37 Depth=1
	s_wait_xcnt 0x0
	s_mov_b64 s[22:23], 0
	s_mov_b64 s[24:25], 0
.LBB3_54:                               ;   Parent Loop BB3_37 Depth=1
                                        ; =>  This Inner Loop Header: Depth=2
	s_wait_xcnt 0x0
	s_add_nc_u64 s[28:29], s[20:21], s[24:25]
	s_add_nc_u64 s[24:25], s[24:25], 1
	global_load_u8 v1, v9, s[28:29]
	s_cmp_lg_u32 s9, s24
	s_wait_loadcnt 0x0
	v_and_b32_e32 v8, 0xffff, v1
	s_delay_alu instid0(VALU_DEP_1) | instskip(SKIP_1) | instid1(VALU_DEP_1)
	v_lshlrev_b64_e32 v[16:17], s22, v[8:9]
	s_add_nc_u64 s[22:23], s[22:23], 8
	v_or_b32_e32 v14, v16, v14
	s_delay_alu instid0(VALU_DEP_2)
	v_or_b32_e32 v15, v17, v15
	s_cbranch_scc1 .LBB3_54
.LBB3_55:                               ;   in Loop: Header=BB3_37 Depth=1
	s_wait_xcnt 0x0
	s_mov_b64 s[22:23], s[20:21]
	s_mov_b32 s3, 0
	s_cbranch_execz .LBB3_57
	s_branch .LBB3_58
.LBB3_56:                               ;   in Loop: Header=BB3_37 Depth=1
	s_wait_xcnt 0x0
	s_add_nc_u64 s[22:23], s[20:21], 8
                                        ; kill: def $vgpr14_vgpr15 killed $sgpr0_sgpr1 killed $exec
	s_mov_b32 s3, 0
.LBB3_57:                               ;   in Loop: Header=BB3_37 Depth=1
	global_load_b64 v[14:15], v9, s[20:21]
	s_add_co_i32 s3, s9, -8
.LBB3_58:                               ;   in Loop: Header=BB3_37 Depth=1
	s_delay_alu instid0(SALU_CYCLE_1)
	s_cmp_gt_u32 s3, 7
	s_cbranch_scc1 .LBB3_63
; %bb.59:                               ;   in Loop: Header=BB3_37 Depth=1
	v_mov_b64_e32 v[16:17], 0
	s_cmp_eq_u32 s3, 0
	s_cbranch_scc1 .LBB3_62
; %bb.60:                               ;   in Loop: Header=BB3_37 Depth=1
	s_wait_xcnt 0x0
	s_mov_b64 s[20:21], 0
	s_mov_b64 s[24:25], 0
.LBB3_61:                               ;   Parent Loop BB3_37 Depth=1
                                        ; =>  This Inner Loop Header: Depth=2
	s_wait_xcnt 0x0
	s_add_nc_u64 s[28:29], s[22:23], s[24:25]
	s_add_nc_u64 s[24:25], s[24:25], 1
	global_load_u8 v1, v9, s[28:29]
	s_cmp_lg_u32 s3, s24
	s_wait_loadcnt 0x0
	v_and_b32_e32 v8, 0xffff, v1
	s_delay_alu instid0(VALU_DEP_1) | instskip(SKIP_1) | instid1(VALU_DEP_1)
	v_lshlrev_b64_e32 v[18:19], s20, v[8:9]
	s_add_nc_u64 s[20:21], s[20:21], 8
	v_or_b32_e32 v16, v18, v16
	s_delay_alu instid0(VALU_DEP_2)
	v_or_b32_e32 v17, v19, v17
	s_cbranch_scc1 .LBB3_61
.LBB3_62:                               ;   in Loop: Header=BB3_37 Depth=1
	s_wait_xcnt 0x0
	s_mov_b64 s[20:21], s[22:23]
	s_mov_b32 s9, 0
	s_cbranch_execz .LBB3_64
	s_branch .LBB3_65
.LBB3_63:                               ;   in Loop: Header=BB3_37 Depth=1
	s_wait_xcnt 0x0
	s_add_nc_u64 s[20:21], s[22:23], 8
                                        ; implicit-def: $vgpr16_vgpr17
	s_mov_b32 s9, 0
.LBB3_64:                               ;   in Loop: Header=BB3_37 Depth=1
	global_load_b64 v[16:17], v9, s[22:23]
	s_add_co_i32 s9, s3, -8
.LBB3_65:                               ;   in Loop: Header=BB3_37 Depth=1
	s_delay_alu instid0(SALU_CYCLE_1)
	s_cmp_gt_u32 s9, 7
	s_cbranch_scc1 .LBB3_70
; %bb.66:                               ;   in Loop: Header=BB3_37 Depth=1
	v_mov_b64_e32 v[18:19], 0
	s_cmp_eq_u32 s9, 0
	s_cbranch_scc1 .LBB3_69
; %bb.67:                               ;   in Loop: Header=BB3_37 Depth=1
	s_wait_xcnt 0x0
	s_mov_b64 s[22:23], 0
	s_mov_b64 s[24:25], 0
.LBB3_68:                               ;   Parent Loop BB3_37 Depth=1
                                        ; =>  This Inner Loop Header: Depth=2
	s_wait_xcnt 0x0
	s_add_nc_u64 s[28:29], s[20:21], s[24:25]
	s_add_nc_u64 s[24:25], s[24:25], 1
	global_load_u8 v1, v9, s[28:29]
	s_cmp_lg_u32 s9, s24
	s_wait_loadcnt 0x0
	v_and_b32_e32 v8, 0xffff, v1
	s_delay_alu instid0(VALU_DEP_1) | instskip(SKIP_1) | instid1(VALU_DEP_1)
	v_lshlrev_b64_e32 v[20:21], s22, v[8:9]
	s_add_nc_u64 s[22:23], s[22:23], 8
	v_or_b32_e32 v18, v20, v18
	s_delay_alu instid0(VALU_DEP_2)
	v_or_b32_e32 v19, v21, v19
	s_cbranch_scc1 .LBB3_68
.LBB3_69:                               ;   in Loop: Header=BB3_37 Depth=1
	s_wait_xcnt 0x0
	s_mov_b64 s[22:23], s[20:21]
	s_mov_b32 s3, 0
	s_cbranch_execz .LBB3_71
	s_branch .LBB3_72
.LBB3_70:                               ;   in Loop: Header=BB3_37 Depth=1
	s_wait_xcnt 0x0
	s_add_nc_u64 s[22:23], s[20:21], 8
                                        ; kill: def $vgpr18_vgpr19 killed $sgpr0_sgpr1 killed $exec
	s_mov_b32 s3, 0
.LBB3_71:                               ;   in Loop: Header=BB3_37 Depth=1
	global_load_b64 v[18:19], v9, s[20:21]
	s_add_co_i32 s3, s9, -8
.LBB3_72:                               ;   in Loop: Header=BB3_37 Depth=1
	s_delay_alu instid0(SALU_CYCLE_1)
	s_cmp_gt_u32 s3, 7
	s_cbranch_scc1 .LBB3_77
; %bb.73:                               ;   in Loop: Header=BB3_37 Depth=1
	v_mov_b64_e32 v[20:21], 0
	s_cmp_eq_u32 s3, 0
	s_cbranch_scc1 .LBB3_76
; %bb.74:                               ;   in Loop: Header=BB3_37 Depth=1
	s_wait_xcnt 0x0
	s_mov_b64 s[20:21], 0
	s_mov_b64 s[24:25], 0
.LBB3_75:                               ;   Parent Loop BB3_37 Depth=1
                                        ; =>  This Inner Loop Header: Depth=2
	s_wait_xcnt 0x0
	s_add_nc_u64 s[28:29], s[22:23], s[24:25]
	s_add_nc_u64 s[24:25], s[24:25], 1
	global_load_u8 v1, v9, s[28:29]
	s_cmp_lg_u32 s3, s24
	s_wait_loadcnt 0x0
	v_and_b32_e32 v8, 0xffff, v1
	s_delay_alu instid0(VALU_DEP_1) | instskip(SKIP_1) | instid1(VALU_DEP_1)
	v_lshlrev_b64_e32 v[22:23], s20, v[8:9]
	s_add_nc_u64 s[20:21], s[20:21], 8
	v_or_b32_e32 v20, v22, v20
	s_delay_alu instid0(VALU_DEP_2)
	v_or_b32_e32 v21, v23, v21
	s_cbranch_scc1 .LBB3_75
.LBB3_76:                               ;   in Loop: Header=BB3_37 Depth=1
	s_wait_xcnt 0x0
	s_mov_b64 s[20:21], s[22:23]
	s_mov_b32 s9, 0
	s_cbranch_execz .LBB3_78
	s_branch .LBB3_79
.LBB3_77:                               ;   in Loop: Header=BB3_37 Depth=1
	s_wait_xcnt 0x0
	s_add_nc_u64 s[20:21], s[22:23], 8
                                        ; implicit-def: $vgpr20_vgpr21
	s_mov_b32 s9, 0
.LBB3_78:                               ;   in Loop: Header=BB3_37 Depth=1
	global_load_b64 v[20:21], v9, s[22:23]
	s_add_co_i32 s9, s3, -8
.LBB3_79:                               ;   in Loop: Header=BB3_37 Depth=1
	s_delay_alu instid0(SALU_CYCLE_1)
	s_cmp_gt_u32 s9, 7
	s_cbranch_scc1 .LBB3_84
; %bb.80:                               ;   in Loop: Header=BB3_37 Depth=1
	v_mov_b64_e32 v[22:23], 0
	s_cmp_eq_u32 s9, 0
	s_cbranch_scc1 .LBB3_83
; %bb.81:                               ;   in Loop: Header=BB3_37 Depth=1
	s_wait_xcnt 0x0
	s_mov_b64 s[22:23], 0
	s_mov_b64 s[24:25], s[20:21]
.LBB3_82:                               ;   Parent Loop BB3_37 Depth=1
                                        ; =>  This Inner Loop Header: Depth=2
	global_load_u8 v1, v9, s[24:25]
	s_add_co_i32 s9, s9, -1
	s_wait_xcnt 0x0
	s_add_nc_u64 s[24:25], s[24:25], 1
	s_cmp_lg_u32 s9, 0
	s_wait_loadcnt 0x0
	v_and_b32_e32 v8, 0xffff, v1
	s_delay_alu instid0(VALU_DEP_1) | instskip(SKIP_1) | instid1(VALU_DEP_1)
	v_lshlrev_b64_e32 v[24:25], s22, v[8:9]
	s_add_nc_u64 s[22:23], s[22:23], 8
	v_or_b32_e32 v22, v24, v22
	s_delay_alu instid0(VALU_DEP_2)
	v_or_b32_e32 v23, v25, v23
	s_cbranch_scc1 .LBB3_82
.LBB3_83:                               ;   in Loop: Header=BB3_37 Depth=1
	s_cbranch_execz .LBB3_85
	s_branch .LBB3_86
.LBB3_84:                               ;   in Loop: Header=BB3_37 Depth=1
                                        ; kill: def $vgpr22_vgpr23 killed $sgpr0_sgpr1 killed $exec
.LBB3_85:                               ;   in Loop: Header=BB3_37 Depth=1
	global_load_b64 v[22:23], v9, s[20:21]
.LBB3_86:                               ;   in Loop: Header=BB3_37 Depth=1
	v_readfirstlane_b32 s3, v29
	v_mov_b64_e32 v[30:31], 0
	s_delay_alu instid0(VALU_DEP_2)
	v_cmp_eq_u32_e64 s3, s3, v29
	s_wait_xcnt 0x0
	s_and_saveexec_b32 s9, s3
	s_cbranch_execz .LBB3_92
; %bb.87:                               ;   in Loop: Header=BB3_37 Depth=1
	global_load_b64 v[26:27], v9, s[12:13] offset:24 scope:SCOPE_SYS
	s_wait_loadcnt 0x0
	global_inv scope:SCOPE_SYS
	s_clause 0x1
	global_load_b64 v[24:25], v9, s[12:13] offset:40
	global_load_b64 v[30:31], v9, s[12:13]
	s_mov_b32 s20, exec_lo
	s_wait_loadcnt 0x1
	v_and_b32_e32 v24, v24, v26
	v_and_b32_e32 v25, v25, v27
	s_delay_alu instid0(VALU_DEP_1) | instskip(SKIP_1) | instid1(VALU_DEP_1)
	v_mul_u64_e32 v[24:25], 24, v[24:25]
	s_wait_loadcnt 0x0
	v_add_nc_u64_e32 v[24:25], v[30:31], v[24:25]
	global_load_b64 v[24:25], v[24:25], off scope:SCOPE_SYS
	s_wait_xcnt 0x0
	s_wait_loadcnt 0x0
	global_atomic_cmpswap_b64 v[30:31], v9, v[24:27], s[12:13] offset:24 th:TH_ATOMIC_RETURN scope:SCOPE_SYS
	s_wait_loadcnt 0x0
	global_inv scope:SCOPE_SYS
	s_wait_xcnt 0x0
	v_cmpx_ne_u64_e64 v[30:31], v[26:27]
	s_cbranch_execz .LBB3_91
; %bb.88:                               ;   in Loop: Header=BB3_37 Depth=1
	s_mov_b32 s21, 0
.LBB3_89:                               ;   Parent Loop BB3_37 Depth=1
                                        ; =>  This Inner Loop Header: Depth=2
	s_sleep 1
	s_clause 0x1
	global_load_b64 v[24:25], v9, s[12:13] offset:40
	global_load_b64 v[32:33], v9, s[12:13]
	v_mov_b64_e32 v[26:27], v[30:31]
	s_wait_loadcnt 0x1
	s_delay_alu instid0(VALU_DEP_1) | instskip(SKIP_1) | instid1(VALU_DEP_1)
	v_and_b32_e32 v1, v24, v26
	s_wait_loadcnt 0x0
	v_mad_nc_u64_u32 v[30:31], v1, 24, v[32:33]
	s_delay_alu instid0(VALU_DEP_3) | instskip(NEXT) | instid1(VALU_DEP_1)
	v_and_b32_e32 v1, v25, v27
	v_mad_u32 v31, v1, 24, v31
	global_load_b64 v[24:25], v[30:31], off scope:SCOPE_SYS
	s_wait_xcnt 0x0
	s_wait_loadcnt 0x0
	global_atomic_cmpswap_b64 v[30:31], v9, v[24:27], s[12:13] offset:24 th:TH_ATOMIC_RETURN scope:SCOPE_SYS
	s_wait_loadcnt 0x0
	global_inv scope:SCOPE_SYS
	v_cmp_eq_u64_e32 vcc_lo, v[30:31], v[26:27]
	s_or_b32 s21, vcc_lo, s21
	s_wait_xcnt 0x0
	s_and_not1_b32 exec_lo, exec_lo, s21
	s_cbranch_execnz .LBB3_89
; %bb.90:                               ;   in Loop: Header=BB3_37 Depth=1
	s_or_b32 exec_lo, exec_lo, s21
.LBB3_91:                               ;   in Loop: Header=BB3_37 Depth=1
	s_delay_alu instid0(SALU_CYCLE_1)
	s_or_b32 exec_lo, exec_lo, s20
.LBB3_92:                               ;   in Loop: Header=BB3_37 Depth=1
	s_delay_alu instid0(SALU_CYCLE_1)
	s_or_b32 exec_lo, exec_lo, s9
	s_clause 0x1
	global_load_b64 v[32:33], v9, s[12:13] offset:40
	global_load_b128 v[24:27], v9, s[12:13]
	v_readfirstlane_b32 s20, v30
	v_readfirstlane_b32 s21, v31
	s_mov_b32 s9, exec_lo
	s_wait_loadcnt 0x1
	v_and_b32_e32 v32, s20, v32
	v_and_b32_e32 v33, s21, v33
	s_delay_alu instid0(VALU_DEP_1) | instskip(SKIP_1) | instid1(VALU_DEP_1)
	v_mul_u64_e32 v[30:31], 24, v[32:33]
	s_wait_loadcnt 0x0
	v_add_nc_u64_e32 v[30:31], v[24:25], v[30:31]
	s_wait_xcnt 0x0
	s_and_saveexec_b32 s22, s3
	s_cbranch_execz .LBB3_94
; %bb.93:                               ;   in Loop: Header=BB3_37 Depth=1
	v_mov_b32_e32 v8, s9
	global_store_b128 v[30:31], v[8:11], off offset:8
.LBB3_94:                               ;   in Loop: Header=BB3_37 Depth=1
	s_wait_xcnt 0x0
	s_or_b32 exec_lo, exec_lo, s22
	v_cmp_lt_u64_e64 vcc_lo, s[16:17], 57
	v_lshlrev_b64_e32 v[32:33], 12, v[32:33]
	v_and_b32_e32 v4, 0xffffff1f, v4
	s_lshl_b32 s9, s18, 2
	s_delay_alu instid0(SALU_CYCLE_1) | instskip(SKIP_1) | instid1(VALU_DEP_3)
	s_add_co_i32 s9, s9, 28
	v_cndmask_b32_e32 v1, 0, v28, vcc_lo
	v_add_nc_u64_e32 v[26:27], v[26:27], v[32:33]
	s_delay_alu instid0(VALU_DEP_2) | instskip(NEXT) | instid1(VALU_DEP_2)
	v_or_b32_e32 v1, v4, v1
	v_readfirstlane_b32 s22, v26
	s_delay_alu instid0(VALU_DEP_3) | instskip(NEXT) | instid1(VALU_DEP_3)
	v_readfirstlane_b32 s23, v27
	v_and_or_b32 v4, 0x1e0, s9, v1
	s_clause 0x3
	global_store_b128 v0, v[4:7], s[22:23]
	global_store_b128 v0, v[12:15], s[22:23] offset:16
	global_store_b128 v0, v[16:19], s[22:23] offset:32
	;; [unrolled: 1-line block ×3, first 2 shown]
	s_wait_xcnt 0x0
	s_and_saveexec_b32 s9, s3
	s_cbranch_execz .LBB3_102
; %bb.95:                               ;   in Loop: Header=BB3_37 Depth=1
	s_clause 0x1
	global_load_b64 v[16:17], v9, s[12:13] offset:32 scope:SCOPE_SYS
	global_load_b64 v[4:5], v9, s[12:13] offset:40
	s_mov_b32 s22, exec_lo
	v_dual_mov_b32 v14, s20 :: v_dual_mov_b32 v15, s21
	s_wait_loadcnt 0x0
	v_and_b32_e32 v5, s21, v5
	v_and_b32_e32 v4, s20, v4
	s_delay_alu instid0(VALU_DEP_1) | instskip(NEXT) | instid1(VALU_DEP_1)
	v_mul_u64_e32 v[4:5], 24, v[4:5]
	v_add_nc_u64_e32 v[12:13], v[24:25], v[4:5]
	global_store_b64 v[12:13], v[16:17], off
	global_wb scope:SCOPE_SYS
	s_wait_storecnt 0x0
	s_wait_xcnt 0x0
	global_atomic_cmpswap_b64 v[6:7], v9, v[14:17], s[12:13] offset:32 th:TH_ATOMIC_RETURN scope:SCOPE_SYS
	s_wait_loadcnt 0x0
	v_cmpx_ne_u64_e64 v[6:7], v[16:17]
	s_cbranch_execz .LBB3_98
; %bb.96:                               ;   in Loop: Header=BB3_37 Depth=1
	s_mov_b32 s23, 0
.LBB3_97:                               ;   Parent Loop BB3_37 Depth=1
                                        ; =>  This Inner Loop Header: Depth=2
	v_dual_mov_b32 v4, s20 :: v_dual_mov_b32 v5, s21
	s_sleep 1
	global_store_b64 v[12:13], v[6:7], off
	global_wb scope:SCOPE_SYS
	s_wait_storecnt 0x0
	s_wait_xcnt 0x0
	global_atomic_cmpswap_b64 v[4:5], v9, v[4:7], s[12:13] offset:32 th:TH_ATOMIC_RETURN scope:SCOPE_SYS
	s_wait_loadcnt 0x0
	v_cmp_eq_u64_e32 vcc_lo, v[4:5], v[6:7]
	v_mov_b64_e32 v[6:7], v[4:5]
	s_or_b32 s23, vcc_lo, s23
	s_delay_alu instid0(SALU_CYCLE_1)
	s_and_not1_b32 exec_lo, exec_lo, s23
	s_cbranch_execnz .LBB3_97
.LBB3_98:                               ;   in Loop: Header=BB3_37 Depth=1
	s_or_b32 exec_lo, exec_lo, s22
	global_load_b64 v[4:5], v9, s[12:13] offset:16
	s_mov_b32 s23, exec_lo
	s_mov_b32 s22, exec_lo
	v_mbcnt_lo_u32_b32 v1, s23, 0
	s_wait_xcnt 0x0
	s_delay_alu instid0(VALU_DEP_1)
	v_cmpx_eq_u32_e32 0, v1
	s_cbranch_execz .LBB3_100
; %bb.99:                               ;   in Loop: Header=BB3_37 Depth=1
	s_bcnt1_i32_b32 s23, s23
	s_delay_alu instid0(SALU_CYCLE_1)
	v_mov_b32_e32 v8, s23
	global_wb scope:SCOPE_SYS
	s_wait_loadcnt 0x0
	s_wait_storecnt 0x0
	global_atomic_add_u64 v[4:5], v[8:9], off offset:8 scope:SCOPE_SYS
.LBB3_100:                              ;   in Loop: Header=BB3_37 Depth=1
	s_wait_xcnt 0x0
	s_or_b32 exec_lo, exec_lo, s22
	s_wait_loadcnt 0x0
	global_load_b64 v[6:7], v[4:5], off offset:16
	s_wait_loadcnt 0x0
	v_cmp_eq_u64_e32 vcc_lo, 0, v[6:7]
	s_cbranch_vccnz .LBB3_102
; %bb.101:                              ;   in Loop: Header=BB3_37 Depth=1
	global_load_b32 v8, v[4:5], off offset:24
	s_wait_loadcnt 0x0
	v_readfirstlane_b32 s22, v8
	global_wb scope:SCOPE_SYS
	s_wait_storecnt 0x0
	s_wait_xcnt 0x0
	global_store_b64 v[6:7], v[8:9], off scope:SCOPE_SYS
	s_and_b32 m0, s22, 0xffffff
	s_sendmsg sendmsg(MSG_INTERRUPT)
.LBB3_102:                              ;   in Loop: Header=BB3_37 Depth=1
	s_wait_xcnt 0x0
	s_or_b32 exec_lo, exec_lo, s9
	v_mov_b32_e32 v1, v9
	s_delay_alu instid0(VALU_DEP_1)
	v_add_nc_u64_e32 v[4:5], v[26:27], v[0:1]
	s_branch .LBB3_106
.LBB3_103:                              ;   in Loop: Header=BB3_106 Depth=2
	s_wait_xcnt 0x0
	s_or_b32 exec_lo, exec_lo, s9
	s_delay_alu instid0(VALU_DEP_1)
	v_readfirstlane_b32 s9, v1
	s_cmp_eq_u32 s9, 0
	s_cbranch_scc1 .LBB3_105
; %bb.104:                              ;   in Loop: Header=BB3_106 Depth=2
	s_sleep 1
	s_cbranch_execnz .LBB3_106
	s_branch .LBB3_108
.LBB3_105:                              ;   in Loop: Header=BB3_37 Depth=1
	s_branch .LBB3_108
.LBB3_106:                              ;   Parent Loop BB3_37 Depth=1
                                        ; =>  This Inner Loop Header: Depth=2
	v_mov_b32_e32 v1, 1
	s_and_saveexec_b32 s9, s3
	s_cbranch_execz .LBB3_103
; %bb.107:                              ;   in Loop: Header=BB3_106 Depth=2
	global_load_b32 v1, v[30:31], off offset:20 scope:SCOPE_SYS
	s_wait_loadcnt 0x0
	global_inv scope:SCOPE_SYS
	v_and_b32_e32 v1, 1, v1
	s_branch .LBB3_103
.LBB3_108:                              ;   in Loop: Header=BB3_37 Depth=1
	global_load_b64 v[4:5], v[4:5], off
	s_wait_xcnt 0x0
	s_and_saveexec_b32 s9, s3
	s_cbranch_execz .LBB3_36
; %bb.109:                              ;   in Loop: Header=BB3_37 Depth=1
	s_clause 0x2
	global_load_b64 v[6:7], v9, s[12:13] offset:40
	global_load_b64 v[16:17], v9, s[12:13] offset:24 scope:SCOPE_SYS
	global_load_b64 v[12:13], v9, s[12:13]
	s_wait_loadcnt 0x2
	v_readfirstlane_b32 s22, v6
	v_readfirstlane_b32 s23, v7
	s_add_nc_u64 s[24:25], s[22:23], 1
	s_delay_alu instid0(SALU_CYCLE_1) | instskip(NEXT) | instid1(SALU_CYCLE_1)
	s_add_nc_u64 s[20:21], s[24:25], s[20:21]
	s_cmp_eq_u64 s[20:21], 0
	s_cselect_b32 s21, s25, s21
	s_cselect_b32 s20, s24, s20
	s_delay_alu instid0(SALU_CYCLE_1) | instskip(SKIP_1) | instid1(SALU_CYCLE_1)
	v_dual_mov_b32 v15, s21 :: v_dual_mov_b32 v14, s20
	s_and_b64 s[22:23], s[20:21], s[22:23]
	s_mul_u64 s[22:23], s[22:23], 24
	s_wait_loadcnt 0x0
	v_add_nc_u64_e32 v[6:7], s[22:23], v[12:13]
	global_store_b64 v[6:7], v[16:17], off
	global_wb scope:SCOPE_SYS
	s_wait_storecnt 0x0
	s_wait_xcnt 0x0
	global_atomic_cmpswap_b64 v[14:15], v9, v[14:17], s[12:13] offset:24 th:TH_ATOMIC_RETURN scope:SCOPE_SYS
	s_wait_loadcnt 0x0
	v_cmp_ne_u64_e32 vcc_lo, v[14:15], v[16:17]
	s_and_b32 exec_lo, exec_lo, vcc_lo
	s_cbranch_execz .LBB3_36
; %bb.110:                              ;   in Loop: Header=BB3_37 Depth=1
	s_mov_b32 s3, 0
.LBB3_111:                              ;   Parent Loop BB3_37 Depth=1
                                        ; =>  This Inner Loop Header: Depth=2
	v_dual_mov_b32 v12, s20 :: v_dual_mov_b32 v13, s21
	s_sleep 1
	global_store_b64 v[6:7], v[14:15], off
	global_wb scope:SCOPE_SYS
	s_wait_storecnt 0x0
	s_wait_xcnt 0x0
	global_atomic_cmpswap_b64 v[12:13], v9, v[12:15], s[12:13] offset:24 th:TH_ATOMIC_RETURN scope:SCOPE_SYS
	s_wait_loadcnt 0x0
	v_cmp_eq_u64_e32 vcc_lo, v[12:13], v[14:15]
	v_mov_b64_e32 v[14:15], v[12:13]
	s_or_b32 s3, vcc_lo, s3
	s_delay_alu instid0(SALU_CYCLE_1)
	s_and_not1_b32 exec_lo, exec_lo, s3
	s_cbranch_execnz .LBB3_111
	s_branch .LBB3_36
.LBB3_112:
	s_branch .LBB3_141
.LBB3_113:
                                        ; implicit-def: $vgpr4_vgpr5
	s_cbranch_execz .LBB3_141
; %bb.114:
	v_readfirstlane_b32 s3, v29
	s_wait_loadcnt 0x0
	v_mov_b64_e32 v[4:5], 0
	s_delay_alu instid0(VALU_DEP_2)
	v_cmp_eq_u32_e64 s3, s3, v29
	s_and_saveexec_b32 s9, s3
	s_cbranch_execz .LBB3_120
; %bb.115:
	v_mov_b32_e32 v1, 0
	s_mov_b32 s14, exec_lo
	global_load_b64 v[6:7], v1, s[12:13] offset:24 scope:SCOPE_SYS
	s_wait_loadcnt 0x0
	global_inv scope:SCOPE_SYS
	s_clause 0x1
	global_load_b64 v[4:5], v1, s[12:13] offset:40
	global_load_b64 v[8:9], v1, s[12:13]
	s_wait_loadcnt 0x1
	v_and_b32_e32 v4, v4, v6
	v_and_b32_e32 v5, v5, v7
	s_delay_alu instid0(VALU_DEP_1) | instskip(SKIP_1) | instid1(VALU_DEP_1)
	v_mul_u64_e32 v[4:5], 24, v[4:5]
	s_wait_loadcnt 0x0
	v_add_nc_u64_e32 v[4:5], v[8:9], v[4:5]
	global_load_b64 v[4:5], v[4:5], off scope:SCOPE_SYS
	s_wait_xcnt 0x0
	s_wait_loadcnt 0x0
	global_atomic_cmpswap_b64 v[4:5], v1, v[4:7], s[12:13] offset:24 th:TH_ATOMIC_RETURN scope:SCOPE_SYS
	s_wait_loadcnt 0x0
	global_inv scope:SCOPE_SYS
	s_wait_xcnt 0x0
	v_cmpx_ne_u64_e64 v[4:5], v[6:7]
	s_cbranch_execz .LBB3_119
; %bb.116:
	s_mov_b32 s15, 0
.LBB3_117:                              ; =>This Inner Loop Header: Depth=1
	s_sleep 1
	s_clause 0x1
	global_load_b64 v[8:9], v1, s[12:13] offset:40
	global_load_b64 v[10:11], v1, s[12:13]
	v_mov_b64_e32 v[6:7], v[4:5]
	s_wait_loadcnt 0x1
	s_delay_alu instid0(VALU_DEP_1) | instskip(NEXT) | instid1(VALU_DEP_2)
	v_and_b32_e32 v4, v8, v6
	v_and_b32_e32 v8, v9, v7
	s_wait_loadcnt 0x0
	s_delay_alu instid0(VALU_DEP_2) | instskip(NEXT) | instid1(VALU_DEP_1)
	v_mad_nc_u64_u32 v[4:5], v4, 24, v[10:11]
	v_mad_u32 v5, v8, 24, v5
	global_load_b64 v[4:5], v[4:5], off scope:SCOPE_SYS
	s_wait_xcnt 0x0
	s_wait_loadcnt 0x0
	global_atomic_cmpswap_b64 v[4:5], v1, v[4:7], s[12:13] offset:24 th:TH_ATOMIC_RETURN scope:SCOPE_SYS
	s_wait_loadcnt 0x0
	global_inv scope:SCOPE_SYS
	v_cmp_eq_u64_e32 vcc_lo, v[4:5], v[6:7]
	s_or_b32 s15, vcc_lo, s15
	s_wait_xcnt 0x0
	s_and_not1_b32 exec_lo, exec_lo, s15
	s_cbranch_execnz .LBB3_117
; %bb.118:
	s_or_b32 exec_lo, exec_lo, s15
.LBB3_119:
	s_delay_alu instid0(SALU_CYCLE_1)
	s_or_b32 exec_lo, exec_lo, s14
.LBB3_120:
	s_delay_alu instid0(SALU_CYCLE_1)
	s_or_b32 exec_lo, exec_lo, s9
	v_readfirstlane_b32 s14, v4
	v_mov_b32_e32 v1, 0
	v_readfirstlane_b32 s15, v5
	s_mov_b32 s9, exec_lo
	s_clause 0x1
	global_load_b64 v[10:11], v1, s[12:13] offset:40
	global_load_b128 v[6:9], v1, s[12:13]
	s_wait_loadcnt 0x1
	v_and_b32_e32 v4, s14, v10
	v_and_b32_e32 v5, s15, v11
	s_delay_alu instid0(VALU_DEP_1) | instskip(SKIP_1) | instid1(VALU_DEP_1)
	v_mul_u64_e32 v[10:11], 24, v[4:5]
	s_wait_loadcnt 0x0
	v_add_nc_u64_e32 v[10:11], v[6:7], v[10:11]
	s_wait_xcnt 0x0
	s_and_saveexec_b32 s16, s3
	s_cbranch_execz .LBB3_122
; %bb.121:
	v_mov_b64_e32 v[14:15], 0x100000002
	v_dual_mov_b32 v12, s9 :: v_dual_mov_b32 v13, v1
	global_store_b128 v[10:11], v[12:15], off offset:8
.LBB3_122:
	s_wait_xcnt 0x0
	s_or_b32 exec_lo, exec_lo, s16
	v_lshlrev_b64_e32 v[4:5], 12, v[4:5]
	s_mov_b32 s16, 0
	v_and_or_b32 v2, 0xffffff1f, v2, 32
	s_mov_b32 s17, s16
	s_mov_b32 s18, s16
	;; [unrolled: 1-line block ×3, first 2 shown]
	v_mov_b64_e32 v[12:13], s[16:17]
	v_add_nc_u64_e32 v[8:9], v[8:9], v[4:5]
	v_mov_b64_e32 v[14:15], s[18:19]
	v_dual_mov_b32 v4, v1 :: v_dual_mov_b32 v5, v1
	s_delay_alu instid0(VALU_DEP_3) | instskip(NEXT) | instid1(VALU_DEP_4)
	v_readfirstlane_b32 s20, v8
	v_readfirstlane_b32 s21, v9
	s_clause 0x3
	global_store_b128 v0, v[2:5], s[20:21]
	global_store_b128 v0, v[12:15], s[20:21] offset:16
	global_store_b128 v0, v[12:15], s[20:21] offset:32
	;; [unrolled: 1-line block ×3, first 2 shown]
	s_wait_xcnt 0x0
	s_and_saveexec_b32 s9, s3
	s_cbranch_execz .LBB3_130
; %bb.123:
	v_dual_mov_b32 v12, 0 :: v_dual_mov_b32 v15, s15
	s_mov_b32 s16, exec_lo
	s_clause 0x1
	global_load_b64 v[16:17], v12, s[12:13] offset:32 scope:SCOPE_SYS
	global_load_b64 v[2:3], v12, s[12:13] offset:40
	s_wait_loadcnt 0x0
	v_dual_mov_b32 v14, s14 :: v_dual_bitop2_b32 v3, s15, v3 bitop3:0x40
	v_and_b32_e32 v2, s14, v2
	s_delay_alu instid0(VALU_DEP_1) | instskip(NEXT) | instid1(VALU_DEP_1)
	v_mul_u64_e32 v[2:3], 24, v[2:3]
	v_add_nc_u64_e32 v[6:7], v[6:7], v[2:3]
	global_store_b64 v[6:7], v[16:17], off
	global_wb scope:SCOPE_SYS
	s_wait_storecnt 0x0
	s_wait_xcnt 0x0
	global_atomic_cmpswap_b64 v[4:5], v12, v[14:17], s[12:13] offset:32 th:TH_ATOMIC_RETURN scope:SCOPE_SYS
	s_wait_loadcnt 0x0
	v_cmpx_ne_u64_e64 v[4:5], v[16:17]
	s_cbranch_execz .LBB3_126
; %bb.124:
	s_mov_b32 s17, 0
.LBB3_125:                              ; =>This Inner Loop Header: Depth=1
	v_dual_mov_b32 v2, s14 :: v_dual_mov_b32 v3, s15
	s_sleep 1
	global_store_b64 v[6:7], v[4:5], off
	global_wb scope:SCOPE_SYS
	s_wait_storecnt 0x0
	s_wait_xcnt 0x0
	global_atomic_cmpswap_b64 v[2:3], v12, v[2:5], s[12:13] offset:32 th:TH_ATOMIC_RETURN scope:SCOPE_SYS
	s_wait_loadcnt 0x0
	v_cmp_eq_u64_e32 vcc_lo, v[2:3], v[4:5]
	v_mov_b64_e32 v[4:5], v[2:3]
	s_or_b32 s17, vcc_lo, s17
	s_delay_alu instid0(SALU_CYCLE_1)
	s_and_not1_b32 exec_lo, exec_lo, s17
	s_cbranch_execnz .LBB3_125
.LBB3_126:
	s_or_b32 exec_lo, exec_lo, s16
	v_mov_b32_e32 v5, 0
	s_mov_b32 s17, exec_lo
	s_mov_b32 s16, exec_lo
	v_mbcnt_lo_u32_b32 v4, s17, 0
	global_load_b64 v[2:3], v5, s[12:13] offset:16
	s_wait_xcnt 0x0
	v_cmpx_eq_u32_e32 0, v4
	s_cbranch_execz .LBB3_128
; %bb.127:
	s_bcnt1_i32_b32 s17, s17
	s_delay_alu instid0(SALU_CYCLE_1)
	v_mov_b32_e32 v4, s17
	global_wb scope:SCOPE_SYS
	s_wait_loadcnt 0x0
	s_wait_storecnt 0x0
	global_atomic_add_u64 v[2:3], v[4:5], off offset:8 scope:SCOPE_SYS
.LBB3_128:
	s_wait_xcnt 0x0
	s_or_b32 exec_lo, exec_lo, s16
	s_wait_loadcnt 0x0
	global_load_b64 v[4:5], v[2:3], off offset:16
	s_wait_loadcnt 0x0
	v_cmp_eq_u64_e32 vcc_lo, 0, v[4:5]
	s_cbranch_vccnz .LBB3_130
; %bb.129:
	global_load_b32 v2, v[2:3], off offset:24
	s_wait_xcnt 0x0
	v_mov_b32_e32 v3, 0
	s_wait_loadcnt 0x0
	v_readfirstlane_b32 s16, v2
	global_wb scope:SCOPE_SYS
	s_wait_storecnt 0x0
	global_store_b64 v[4:5], v[2:3], off scope:SCOPE_SYS
	s_and_b32 m0, s16, 0xffffff
	s_sendmsg sendmsg(MSG_INTERRUPT)
.LBB3_130:
	s_wait_xcnt 0x0
	s_or_b32 exec_lo, exec_lo, s9
	v_add_nc_u64_e32 v[2:3], v[8:9], v[0:1]
	s_branch .LBB3_134
.LBB3_131:                              ;   in Loop: Header=BB3_134 Depth=1
	s_wait_xcnt 0x0
	s_or_b32 exec_lo, exec_lo, s9
	s_delay_alu instid0(VALU_DEP_1)
	v_readfirstlane_b32 s9, v1
	s_cmp_eq_u32 s9, 0
	s_cbranch_scc1 .LBB3_133
; %bb.132:                              ;   in Loop: Header=BB3_134 Depth=1
	s_sleep 1
	s_cbranch_execnz .LBB3_134
	s_branch .LBB3_136
.LBB3_133:
	s_branch .LBB3_136
.LBB3_134:                              ; =>This Inner Loop Header: Depth=1
	v_mov_b32_e32 v1, 1
	s_and_saveexec_b32 s9, s3
	s_cbranch_execz .LBB3_131
; %bb.135:                              ;   in Loop: Header=BB3_134 Depth=1
	global_load_b32 v1, v[10:11], off offset:20 scope:SCOPE_SYS
	s_wait_loadcnt 0x0
	global_inv scope:SCOPE_SYS
	v_and_b32_e32 v1, 1, v1
	s_branch .LBB3_131
.LBB3_136:
	global_load_b64 v[4:5], v[2:3], off
	s_wait_xcnt 0x0
	s_and_saveexec_b32 s9, s3
	s_cbranch_execz .LBB3_140
; %bb.137:
	v_mov_b32_e32 v1, 0
	s_clause 0x2
	global_load_b64 v[2:3], v1, s[12:13] offset:40
	global_load_b64 v[10:11], v1, s[12:13] offset:24 scope:SCOPE_SYS
	global_load_b64 v[6:7], v1, s[12:13]
	s_wait_loadcnt 0x2
	v_readfirstlane_b32 s16, v2
	v_readfirstlane_b32 s17, v3
	s_add_nc_u64 s[18:19], s[16:17], 1
	s_delay_alu instid0(SALU_CYCLE_1) | instskip(NEXT) | instid1(SALU_CYCLE_1)
	s_add_nc_u64 s[14:15], s[18:19], s[14:15]
	s_cmp_eq_u64 s[14:15], 0
	s_cselect_b32 s15, s19, s15
	s_cselect_b32 s14, s18, s14
	v_mov_b32_e32 v9, s15
	s_and_b64 s[16:17], s[14:15], s[16:17]
	v_mov_b32_e32 v8, s14
	s_mul_u64 s[16:17], s[16:17], 24
	s_wait_loadcnt 0x0
	v_add_nc_u64_e32 v[2:3], s[16:17], v[6:7]
	global_store_b64 v[2:3], v[10:11], off
	global_wb scope:SCOPE_SYS
	s_wait_storecnt 0x0
	s_wait_xcnt 0x0
	global_atomic_cmpswap_b64 v[8:9], v1, v[8:11], s[12:13] offset:24 th:TH_ATOMIC_RETURN scope:SCOPE_SYS
	s_wait_loadcnt 0x0
	v_cmp_ne_u64_e32 vcc_lo, v[8:9], v[10:11]
	s_and_b32 exec_lo, exec_lo, vcc_lo
	s_cbranch_execz .LBB3_140
; %bb.138:
	s_mov_b32 s3, 0
.LBB3_139:                              ; =>This Inner Loop Header: Depth=1
	v_dual_mov_b32 v6, s14 :: v_dual_mov_b32 v7, s15
	s_sleep 1
	global_store_b64 v[2:3], v[8:9], off
	global_wb scope:SCOPE_SYS
	s_wait_storecnt 0x0
	s_wait_xcnt 0x0
	global_atomic_cmpswap_b64 v[6:7], v1, v[6:9], s[12:13] offset:24 th:TH_ATOMIC_RETURN scope:SCOPE_SYS
	s_wait_loadcnt 0x0
	v_cmp_eq_u64_e32 vcc_lo, v[6:7], v[8:9]
	v_mov_b64_e32 v[8:9], v[6:7]
	s_or_b32 s3, vcc_lo, s3
	s_delay_alu instid0(SALU_CYCLE_1)
	s_and_not1_b32 exec_lo, exec_lo, s3
	s_cbranch_execnz .LBB3_139
.LBB3_140:
	s_or_b32 exec_lo, exec_lo, s9
.LBB3_141:
	v_readfirstlane_b32 s3, v29
	s_wait_loadcnt 0x0
	v_mov_b64_e32 v[2:3], 0
	s_delay_alu instid0(VALU_DEP_2)
	v_cmp_eq_u32_e64 s3, s3, v29
	s_and_saveexec_b32 s9, s3
	s_cbranch_execz .LBB3_147
; %bb.142:
	v_mov_b32_e32 v1, 0
	s_mov_b32 s14, exec_lo
	global_load_b64 v[8:9], v1, s[12:13] offset:24 scope:SCOPE_SYS
	s_wait_loadcnt 0x0
	global_inv scope:SCOPE_SYS
	s_clause 0x1
	global_load_b64 v[2:3], v1, s[12:13] offset:40
	global_load_b64 v[6:7], v1, s[12:13]
	s_wait_loadcnt 0x1
	v_and_b32_e32 v2, v2, v8
	v_and_b32_e32 v3, v3, v9
	s_delay_alu instid0(VALU_DEP_1) | instskip(SKIP_1) | instid1(VALU_DEP_1)
	v_mul_u64_e32 v[2:3], 24, v[2:3]
	s_wait_loadcnt 0x0
	v_add_nc_u64_e32 v[2:3], v[6:7], v[2:3]
	global_load_b64 v[6:7], v[2:3], off scope:SCOPE_SYS
	s_wait_xcnt 0x0
	s_wait_loadcnt 0x0
	global_atomic_cmpswap_b64 v[2:3], v1, v[6:9], s[12:13] offset:24 th:TH_ATOMIC_RETURN scope:SCOPE_SYS
	s_wait_loadcnt 0x0
	global_inv scope:SCOPE_SYS
	s_wait_xcnt 0x0
	v_cmpx_ne_u64_e64 v[2:3], v[8:9]
	s_cbranch_execz .LBB3_146
; %bb.143:
	s_mov_b32 s15, 0
.LBB3_144:                              ; =>This Inner Loop Header: Depth=1
	s_sleep 1
	s_clause 0x1
	global_load_b64 v[6:7], v1, s[12:13] offset:40
	global_load_b64 v[10:11], v1, s[12:13]
	v_mov_b64_e32 v[8:9], v[2:3]
	s_wait_loadcnt 0x1
	s_delay_alu instid0(VALU_DEP_1) | instskip(NEXT) | instid1(VALU_DEP_2)
	v_and_b32_e32 v2, v6, v8
	v_and_b32_e32 v6, v7, v9
	s_wait_loadcnt 0x0
	s_delay_alu instid0(VALU_DEP_2) | instskip(NEXT) | instid1(VALU_DEP_1)
	v_mad_nc_u64_u32 v[2:3], v2, 24, v[10:11]
	v_mad_u32 v3, v6, 24, v3
	global_load_b64 v[6:7], v[2:3], off scope:SCOPE_SYS
	s_wait_xcnt 0x0
	s_wait_loadcnt 0x0
	global_atomic_cmpswap_b64 v[2:3], v1, v[6:9], s[12:13] offset:24 th:TH_ATOMIC_RETURN scope:SCOPE_SYS
	s_wait_loadcnt 0x0
	global_inv scope:SCOPE_SYS
	v_cmp_eq_u64_e32 vcc_lo, v[2:3], v[8:9]
	s_or_b32 s15, vcc_lo, s15
	s_wait_xcnt 0x0
	s_and_not1_b32 exec_lo, exec_lo, s15
	s_cbranch_execnz .LBB3_144
; %bb.145:
	s_or_b32 exec_lo, exec_lo, s15
.LBB3_146:
	s_delay_alu instid0(SALU_CYCLE_1)
	s_or_b32 exec_lo, exec_lo, s14
.LBB3_147:
	s_delay_alu instid0(SALU_CYCLE_1)
	s_or_b32 exec_lo, exec_lo, s9
	v_readfirstlane_b32 s14, v2
	v_mov_b32_e32 v1, 0
	v_readfirstlane_b32 s15, v3
	s_mov_b32 s9, exec_lo
	s_clause 0x1
	global_load_b64 v[6:7], v1, s[12:13] offset:40
	global_load_b128 v[8:11], v1, s[12:13]
	s_wait_loadcnt 0x1
	v_and_b32_e32 v2, s14, v6
	v_and_b32_e32 v3, s15, v7
	s_delay_alu instid0(VALU_DEP_1) | instskip(SKIP_1) | instid1(VALU_DEP_1)
	v_mul_u64_e32 v[6:7], 24, v[2:3]
	s_wait_loadcnt 0x0
	v_add_nc_u64_e32 v[12:13], v[8:9], v[6:7]
	s_wait_xcnt 0x0
	s_and_saveexec_b32 s16, s3
	s_cbranch_execz .LBB3_149
; %bb.148:
	v_mov_b64_e32 v[16:17], 0x100000002
	v_dual_mov_b32 v14, s9 :: v_dual_mov_b32 v15, v1
	global_store_b128 v[12:13], v[14:17], off offset:8
.LBB3_149:
	s_wait_xcnt 0x0
	s_or_b32 exec_lo, exec_lo, s16
	v_lshlrev_b64_e32 v[2:3], 12, v[2:3]
	s_mov_b32 s16, 0
	s_add_co_i32 s9, s8, -1
	s_mov_b32 s17, s16
	s_mov_b32 s18, s16
	;; [unrolled: 1-line block ×3, first 2 shown]
	v_mov_b64_e32 v[14:15], s[16:17]
	v_add_nc_u64_e32 v[10:11], v[10:11], v[2:3]
	v_mov_b64_e32 v[16:17], s[18:19]
	v_and_or_b32 v4, 0xffffff1f, v4, 32
	v_dual_mov_b32 v7, v1 :: v_dual_mov_b32 v6, s9
	s_delay_alu instid0(VALU_DEP_4)
	v_readfirstlane_b32 s20, v10
	v_readfirstlane_b32 s21, v11
	s_clause 0x3
	global_store_b128 v0, v[4:7], s[20:21]
	global_store_b128 v0, v[14:17], s[20:21] offset:16
	global_store_b128 v0, v[14:17], s[20:21] offset:32
	;; [unrolled: 1-line block ×3, first 2 shown]
	s_wait_xcnt 0x0
	s_and_saveexec_b32 s9, s3
	s_cbranch_execz .LBB3_157
; %bb.150:
	v_dual_mov_b32 v14, 0 :: v_dual_mov_b32 v17, s15
	s_mov_b32 s16, exec_lo
	s_clause 0x1
	global_load_b64 v[18:19], v14, s[12:13] offset:32 scope:SCOPE_SYS
	global_load_b64 v[2:3], v14, s[12:13] offset:40
	s_wait_loadcnt 0x0
	v_dual_mov_b32 v16, s14 :: v_dual_bitop2_b32 v3, s15, v3 bitop3:0x40
	v_and_b32_e32 v2, s14, v2
	s_delay_alu instid0(VALU_DEP_1) | instskip(NEXT) | instid1(VALU_DEP_1)
	v_mul_u64_e32 v[2:3], 24, v[2:3]
	v_add_nc_u64_e32 v[6:7], v[8:9], v[2:3]
	global_store_b64 v[6:7], v[18:19], off
	global_wb scope:SCOPE_SYS
	s_wait_storecnt 0x0
	s_wait_xcnt 0x0
	global_atomic_cmpswap_b64 v[4:5], v14, v[16:19], s[12:13] offset:32 th:TH_ATOMIC_RETURN scope:SCOPE_SYS
	s_wait_loadcnt 0x0
	v_cmpx_ne_u64_e64 v[4:5], v[18:19]
	s_cbranch_execz .LBB3_153
; %bb.151:
	s_mov_b32 s17, 0
.LBB3_152:                              ; =>This Inner Loop Header: Depth=1
	v_dual_mov_b32 v2, s14 :: v_dual_mov_b32 v3, s15
	s_sleep 1
	global_store_b64 v[6:7], v[4:5], off
	global_wb scope:SCOPE_SYS
	s_wait_storecnt 0x0
	s_wait_xcnt 0x0
	global_atomic_cmpswap_b64 v[2:3], v14, v[2:5], s[12:13] offset:32 th:TH_ATOMIC_RETURN scope:SCOPE_SYS
	s_wait_loadcnt 0x0
	v_cmp_eq_u64_e32 vcc_lo, v[2:3], v[4:5]
	v_mov_b64_e32 v[4:5], v[2:3]
	s_or_b32 s17, vcc_lo, s17
	s_delay_alu instid0(SALU_CYCLE_1)
	s_and_not1_b32 exec_lo, exec_lo, s17
	s_cbranch_execnz .LBB3_152
.LBB3_153:
	s_or_b32 exec_lo, exec_lo, s16
	v_mov_b32_e32 v5, 0
	s_mov_b32 s17, exec_lo
	s_mov_b32 s16, exec_lo
	v_mbcnt_lo_u32_b32 v4, s17, 0
	global_load_b64 v[2:3], v5, s[12:13] offset:16
	s_wait_xcnt 0x0
	v_cmpx_eq_u32_e32 0, v4
	s_cbranch_execz .LBB3_155
; %bb.154:
	s_bcnt1_i32_b32 s17, s17
	s_delay_alu instid0(SALU_CYCLE_1)
	v_mov_b32_e32 v4, s17
	global_wb scope:SCOPE_SYS
	s_wait_loadcnt 0x0
	s_wait_storecnt 0x0
	global_atomic_add_u64 v[2:3], v[4:5], off offset:8 scope:SCOPE_SYS
.LBB3_155:
	s_wait_xcnt 0x0
	s_or_b32 exec_lo, exec_lo, s16
	s_wait_loadcnt 0x0
	global_load_b64 v[4:5], v[2:3], off offset:16
	s_wait_loadcnt 0x0
	v_cmp_eq_u64_e32 vcc_lo, 0, v[4:5]
	s_cbranch_vccnz .LBB3_157
; %bb.156:
	global_load_b32 v2, v[2:3], off offset:24
	s_wait_xcnt 0x0
	v_mov_b32_e32 v3, 0
	s_wait_loadcnt 0x0
	v_readfirstlane_b32 s16, v2
	global_wb scope:SCOPE_SYS
	s_wait_storecnt 0x0
	global_store_b64 v[4:5], v[2:3], off scope:SCOPE_SYS
	s_and_b32 m0, s16, 0xffffff
	s_sendmsg sendmsg(MSG_INTERRUPT)
.LBB3_157:
	s_wait_xcnt 0x0
	s_or_b32 exec_lo, exec_lo, s9
	v_add_nc_u64_e32 v[2:3], v[10:11], v[0:1]
	s_branch .LBB3_161
.LBB3_158:                              ;   in Loop: Header=BB3_161 Depth=1
	s_wait_xcnt 0x0
	s_or_b32 exec_lo, exec_lo, s9
	s_delay_alu instid0(VALU_DEP_1)
	v_readfirstlane_b32 s9, v1
	s_cmp_eq_u32 s9, 0
	s_cbranch_scc1 .LBB3_160
; %bb.159:                              ;   in Loop: Header=BB3_161 Depth=1
	s_sleep 1
	s_cbranch_execnz .LBB3_161
	s_branch .LBB3_163
.LBB3_160:
	s_branch .LBB3_163
.LBB3_161:                              ; =>This Inner Loop Header: Depth=1
	v_mov_b32_e32 v1, 1
	s_and_saveexec_b32 s9, s3
	s_cbranch_execz .LBB3_158
; %bb.162:                              ;   in Loop: Header=BB3_161 Depth=1
	global_load_b32 v1, v[12:13], off offset:20 scope:SCOPE_SYS
	s_wait_loadcnt 0x0
	global_inv scope:SCOPE_SYS
	v_and_b32_e32 v1, 1, v1
	s_branch .LBB3_158
.LBB3_163:
	global_load_b64 v[2:3], v[2:3], off
	s_wait_xcnt 0x0
	s_and_saveexec_b32 s9, s3
	s_cbranch_execz .LBB3_167
; %bb.164:
	v_mov_b32_e32 v1, 0
	s_clause 0x2
	global_load_b64 v[4:5], v1, s[12:13] offset:40
	global_load_b64 v[12:13], v1, s[12:13] offset:24 scope:SCOPE_SYS
	global_load_b64 v[6:7], v1, s[12:13]
	s_wait_loadcnt 0x2
	v_readfirstlane_b32 s16, v4
	v_readfirstlane_b32 s17, v5
	s_add_nc_u64 s[18:19], s[16:17], 1
	s_delay_alu instid0(SALU_CYCLE_1) | instskip(NEXT) | instid1(SALU_CYCLE_1)
	s_add_nc_u64 s[14:15], s[18:19], s[14:15]
	s_cmp_eq_u64 s[14:15], 0
	s_cselect_b32 s15, s19, s15
	s_cselect_b32 s14, s18, s14
	v_mov_b32_e32 v11, s15
	s_and_b64 s[16:17], s[14:15], s[16:17]
	v_mov_b32_e32 v10, s14
	s_mul_u64 s[16:17], s[16:17], 24
	s_wait_loadcnt 0x0
	v_add_nc_u64_e32 v[8:9], s[16:17], v[6:7]
	global_store_b64 v[8:9], v[12:13], off
	global_wb scope:SCOPE_SYS
	s_wait_storecnt 0x0
	s_wait_xcnt 0x0
	global_atomic_cmpswap_b64 v[6:7], v1, v[10:13], s[12:13] offset:24 th:TH_ATOMIC_RETURN scope:SCOPE_SYS
	s_wait_loadcnt 0x0
	v_cmp_ne_u64_e32 vcc_lo, v[6:7], v[12:13]
	s_and_b32 exec_lo, exec_lo, vcc_lo
	s_cbranch_execz .LBB3_167
; %bb.165:
	s_mov_b32 s3, 0
.LBB3_166:                              ; =>This Inner Loop Header: Depth=1
	v_dual_mov_b32 v4, s14 :: v_dual_mov_b32 v5, s15
	s_sleep 1
	global_store_b64 v[8:9], v[6:7], off
	global_wb scope:SCOPE_SYS
	s_wait_storecnt 0x0
	s_wait_xcnt 0x0
	global_atomic_cmpswap_b64 v[4:5], v1, v[4:7], s[12:13] offset:24 th:TH_ATOMIC_RETURN scope:SCOPE_SYS
	s_wait_loadcnt 0x0
	v_cmp_eq_u64_e32 vcc_lo, v[4:5], v[6:7]
	v_mov_b64_e32 v[6:7], v[4:5]
	s_or_b32 s3, vcc_lo, s3
	s_delay_alu instid0(SALU_CYCLE_1)
	s_and_not1_b32 exec_lo, exec_lo, s3
	s_cbranch_execnz .LBB3_166
.LBB3_167:
	s_or_b32 exec_lo, exec_lo, s9
	v_readfirstlane_b32 s3, v29
	v_mov_b64_e32 v[10:11], 0
	s_delay_alu instid0(VALU_DEP_2)
	v_cmp_eq_u32_e64 s3, s3, v29
	s_and_saveexec_b32 s9, s3
	s_cbranch_execz .LBB3_173
; %bb.168:
	v_mov_b32_e32 v1, 0
	s_mov_b32 s14, exec_lo
	global_load_b64 v[6:7], v1, s[12:13] offset:24 scope:SCOPE_SYS
	s_wait_loadcnt 0x0
	global_inv scope:SCOPE_SYS
	s_clause 0x1
	global_load_b64 v[4:5], v1, s[12:13] offset:40
	global_load_b64 v[8:9], v1, s[12:13]
	s_wait_loadcnt 0x1
	v_and_b32_e32 v4, v4, v6
	v_and_b32_e32 v5, v5, v7
	s_delay_alu instid0(VALU_DEP_1) | instskip(SKIP_1) | instid1(VALU_DEP_1)
	v_mul_u64_e32 v[4:5], 24, v[4:5]
	s_wait_loadcnt 0x0
	v_add_nc_u64_e32 v[4:5], v[8:9], v[4:5]
	global_load_b64 v[4:5], v[4:5], off scope:SCOPE_SYS
	s_wait_xcnt 0x0
	s_wait_loadcnt 0x0
	global_atomic_cmpswap_b64 v[10:11], v1, v[4:7], s[12:13] offset:24 th:TH_ATOMIC_RETURN scope:SCOPE_SYS
	s_wait_loadcnt 0x0
	global_inv scope:SCOPE_SYS
	s_wait_xcnt 0x0
	v_cmpx_ne_u64_e64 v[10:11], v[6:7]
	s_cbranch_execz .LBB3_172
; %bb.169:
	s_mov_b32 s15, 0
.LBB3_170:                              ; =>This Inner Loop Header: Depth=1
	s_sleep 1
	s_clause 0x1
	global_load_b64 v[4:5], v1, s[12:13] offset:40
	global_load_b64 v[8:9], v1, s[12:13]
	v_mov_b64_e32 v[6:7], v[10:11]
	s_wait_loadcnt 0x1
	s_delay_alu instid0(VALU_DEP_1) | instskip(SKIP_1) | instid1(VALU_DEP_1)
	v_and_b32_e32 v4, v4, v6
	s_wait_loadcnt 0x0
	v_mad_nc_u64_u32 v[8:9], v4, 24, v[8:9]
	s_delay_alu instid0(VALU_DEP_3) | instskip(NEXT) | instid1(VALU_DEP_1)
	v_and_b32_e32 v4, v5, v7
	v_mad_u32 v9, v4, 24, v9
	global_load_b64 v[4:5], v[8:9], off scope:SCOPE_SYS
	s_wait_xcnt 0x0
	s_wait_loadcnt 0x0
	global_atomic_cmpswap_b64 v[10:11], v1, v[4:7], s[12:13] offset:24 th:TH_ATOMIC_RETURN scope:SCOPE_SYS
	s_wait_loadcnt 0x0
	global_inv scope:SCOPE_SYS
	v_cmp_eq_u64_e32 vcc_lo, v[10:11], v[6:7]
	s_or_b32 s15, vcc_lo, s15
	s_wait_xcnt 0x0
	s_and_not1_b32 exec_lo, exec_lo, s15
	s_cbranch_execnz .LBB3_170
; %bb.171:
	s_or_b32 exec_lo, exec_lo, s15
.LBB3_172:
	s_delay_alu instid0(SALU_CYCLE_1)
	s_or_b32 exec_lo, exec_lo, s14
.LBB3_173:
	s_delay_alu instid0(SALU_CYCLE_1)
	s_or_b32 exec_lo, exec_lo, s9
	v_readfirstlane_b32 s14, v10
	v_mov_b32_e32 v5, 0
	v_readfirstlane_b32 s15, v11
	s_mov_b32 s9, exec_lo
	s_clause 0x1
	global_load_b64 v[12:13], v5, s[12:13] offset:40
	global_load_b128 v[6:9], v5, s[12:13]
	s_wait_loadcnt 0x1
	v_and_b32_e32 v12, s14, v12
	v_and_b32_e32 v13, s15, v13
	s_delay_alu instid0(VALU_DEP_1) | instskip(SKIP_1) | instid1(VALU_DEP_1)
	v_mul_u64_e32 v[10:11], 24, v[12:13]
	s_wait_loadcnt 0x0
	v_add_nc_u64_e32 v[10:11], v[6:7], v[10:11]
	s_wait_xcnt 0x0
	s_and_saveexec_b32 s16, s3
	s_cbranch_execz .LBB3_175
; %bb.174:
	v_mov_b32_e32 v4, s9
	v_mov_b64_e32 v[16:17], 0x100000002
	s_delay_alu instid0(VALU_DEP_2)
	v_mov_b64_e32 v[14:15], v[4:5]
	global_store_b128 v[10:11], v[14:17], off offset:8
.LBB3_175:
	s_wait_xcnt 0x0
	s_or_b32 exec_lo, exec_lo, s16
	v_lshlrev_b64_e32 v[12:13], 12, v[12:13]
	s_mov_b32 s16, 0
	v_cndmask_b32_e64 v4, -1, v34, s2
	s_mov_b32 s17, s16
	s_mov_b32 s18, s16
	s_mov_b32 s19, s16
	v_and_or_b32 v2, 0xffffff1d, v2, 34
	v_add_nc_u64_e32 v[8:9], v[8:9], v[12:13]
	v_mov_b64_e32 v[12:13], s[16:17]
	v_mov_b64_e32 v[14:15], s[18:19]
	s_delay_alu instid0(VALU_DEP_3) | instskip(NEXT) | instid1(VALU_DEP_4)
	v_readfirstlane_b32 s20, v8
	v_readfirstlane_b32 s21, v9
	s_clause 0x3
	global_store_b128 v0, v[2:5], s[20:21]
	global_store_b128 v0, v[12:15], s[20:21] offset:16
	global_store_b128 v0, v[12:15], s[20:21] offset:32
	;; [unrolled: 1-line block ×3, first 2 shown]
	s_wait_xcnt 0x0
	s_and_saveexec_b32 s2, s3
	s_cbranch_execz .LBB3_182
; %bb.176:
	v_dual_mov_b32 v1, 0 :: v_dual_mov_b32 v13, s15
	s_mov_b32 s9, exec_lo
	s_clause 0x1
	global_load_b64 v[14:15], v1, s[12:13] offset:32 scope:SCOPE_SYS
	global_load_b64 v[2:3], v1, s[12:13] offset:40
	s_wait_loadcnt 0x0
	v_dual_mov_b32 v12, s14 :: v_dual_bitop2_b32 v3, s15, v3 bitop3:0x40
	v_and_b32_e32 v2, s14, v2
	s_delay_alu instid0(VALU_DEP_1) | instskip(NEXT) | instid1(VALU_DEP_1)
	v_mul_u64_e32 v[2:3], 24, v[2:3]
	v_add_nc_u64_e32 v[6:7], v[6:7], v[2:3]
	global_store_b64 v[6:7], v[14:15], off
	global_wb scope:SCOPE_SYS
	s_wait_storecnt 0x0
	s_wait_xcnt 0x0
	global_atomic_cmpswap_b64 v[4:5], v1, v[12:15], s[12:13] offset:32 th:TH_ATOMIC_RETURN scope:SCOPE_SYS
	s_wait_loadcnt 0x0
	v_cmpx_ne_u64_e64 v[4:5], v[14:15]
	s_cbranch_execz .LBB3_178
.LBB3_177:                              ; =>This Inner Loop Header: Depth=1
	v_dual_mov_b32 v2, s14 :: v_dual_mov_b32 v3, s15
	s_sleep 1
	global_store_b64 v[6:7], v[4:5], off
	global_wb scope:SCOPE_SYS
	s_wait_storecnt 0x0
	s_wait_xcnt 0x0
	global_atomic_cmpswap_b64 v[2:3], v1, v[2:5], s[12:13] offset:32 th:TH_ATOMIC_RETURN scope:SCOPE_SYS
	s_wait_loadcnt 0x0
	v_cmp_eq_u64_e32 vcc_lo, v[2:3], v[4:5]
	v_mov_b64_e32 v[4:5], v[2:3]
	s_or_b32 s16, vcc_lo, s16
	s_delay_alu instid0(SALU_CYCLE_1)
	s_and_not1_b32 exec_lo, exec_lo, s16
	s_cbranch_execnz .LBB3_177
.LBB3_178:
	s_or_b32 exec_lo, exec_lo, s9
	v_mov_b32_e32 v5, 0
	s_mov_b32 s16, exec_lo
	s_mov_b32 s9, exec_lo
	v_mbcnt_lo_u32_b32 v1, s16, 0
	global_load_b64 v[2:3], v5, s[12:13] offset:16
	s_wait_xcnt 0x0
	v_cmpx_eq_u32_e32 0, v1
	s_cbranch_execz .LBB3_180
; %bb.179:
	s_bcnt1_i32_b32 s16, s16
	s_delay_alu instid0(SALU_CYCLE_1)
	v_mov_b32_e32 v4, s16
	global_wb scope:SCOPE_SYS
	s_wait_loadcnt 0x0
	s_wait_storecnt 0x0
	global_atomic_add_u64 v[2:3], v[4:5], off offset:8 scope:SCOPE_SYS
.LBB3_180:
	s_wait_xcnt 0x0
	s_or_b32 exec_lo, exec_lo, s9
	s_wait_loadcnt 0x0
	global_load_b64 v[4:5], v[2:3], off offset:16
	s_wait_loadcnt 0x0
	v_cmp_eq_u64_e32 vcc_lo, 0, v[4:5]
	s_cbranch_vccnz .LBB3_182
; %bb.181:
	global_load_b32 v2, v[2:3], off offset:24
	s_wait_xcnt 0x0
	v_mov_b32_e32 v3, 0
	s_wait_loadcnt 0x0
	v_readfirstlane_b32 s9, v2
	global_wb scope:SCOPE_SYS
	s_wait_storecnt 0x0
	global_store_b64 v[4:5], v[2:3], off scope:SCOPE_SYS
	s_and_b32 m0, s9, 0xffffff
	s_sendmsg sendmsg(MSG_INTERRUPT)
.LBB3_182:
	s_wait_xcnt 0x0
	s_or_b32 exec_lo, exec_lo, s2
	s_branch .LBB3_186
.LBB3_183:                              ;   in Loop: Header=BB3_186 Depth=1
	s_wait_xcnt 0x0
	s_or_b32 exec_lo, exec_lo, s2
	s_delay_alu instid0(VALU_DEP_1)
	v_readfirstlane_b32 s2, v1
	s_cmp_eq_u32 s2, 0
	s_cbranch_scc1 .LBB3_185
; %bb.184:                              ;   in Loop: Header=BB3_186 Depth=1
	s_sleep 1
	s_cbranch_execnz .LBB3_186
	s_branch .LBB3_188
.LBB3_185:
	s_branch .LBB3_188
.LBB3_186:                              ; =>This Inner Loop Header: Depth=1
	v_mov_b32_e32 v1, 1
	s_and_saveexec_b32 s2, s3
	s_cbranch_execz .LBB3_183
; %bb.187:                              ;   in Loop: Header=BB3_186 Depth=1
	global_load_b32 v1, v[10:11], off offset:20 scope:SCOPE_SYS
	s_wait_loadcnt 0x0
	global_inv scope:SCOPE_SYS
	v_and_b32_e32 v1, 1, v1
	s_branch .LBB3_183
.LBB3_188:
	s_and_saveexec_b32 s9, s3
	s_cbranch_execz .LBB3_192
; %bb.189:
	v_mov_b32_e32 v1, 0
	s_clause 0x2
	global_load_b64 v[2:3], v1, s[12:13] offset:40
	global_load_b64 v[10:11], v1, s[12:13] offset:24 scope:SCOPE_SYS
	global_load_b64 v[4:5], v1, s[12:13]
	s_wait_loadcnt 0x2
	v_readfirstlane_b32 s16, v2
	v_readfirstlane_b32 s17, v3
	s_add_nc_u64 s[2:3], s[16:17], 1
	s_delay_alu instid0(SALU_CYCLE_1) | instskip(NEXT) | instid1(SALU_CYCLE_1)
	s_add_nc_u64 s[14:15], s[2:3], s[14:15]
	s_cmp_eq_u64 s[14:15], 0
	s_cselect_b32 s3, s3, s15
	s_cselect_b32 s2, s2, s14
	v_mov_b32_e32 v9, s3
	s_and_b64 s[14:15], s[2:3], s[16:17]
	v_mov_b32_e32 v8, s2
	s_mul_u64 s[14:15], s[14:15], 24
	s_wait_loadcnt 0x0
	v_add_nc_u64_e32 v[6:7], s[14:15], v[4:5]
	global_store_b64 v[6:7], v[10:11], off
	global_wb scope:SCOPE_SYS
	s_wait_storecnt 0x0
	s_wait_xcnt 0x0
	global_atomic_cmpswap_b64 v[4:5], v1, v[8:11], s[12:13] offset:24 th:TH_ATOMIC_RETURN scope:SCOPE_SYS
	s_wait_loadcnt 0x0
	v_cmp_ne_u64_e32 vcc_lo, v[4:5], v[10:11]
	s_and_b32 exec_lo, exec_lo, vcc_lo
	s_cbranch_execz .LBB3_192
; %bb.190:
	s_mov_b32 s14, 0
.LBB3_191:                              ; =>This Inner Loop Header: Depth=1
	v_dual_mov_b32 v2, s2 :: v_dual_mov_b32 v3, s3
	s_sleep 1
	global_store_b64 v[6:7], v[4:5], off
	global_wb scope:SCOPE_SYS
	s_wait_storecnt 0x0
	s_wait_xcnt 0x0
	global_atomic_cmpswap_b64 v[2:3], v1, v[2:5], s[12:13] offset:24 th:TH_ATOMIC_RETURN scope:SCOPE_SYS
	s_wait_loadcnt 0x0
	v_cmp_eq_u64_e32 vcc_lo, v[2:3], v[4:5]
	v_mov_b64_e32 v[4:5], v[2:3]
	s_or_b32 s14, vcc_lo, s14
	s_delay_alu instid0(SALU_CYCLE_1)
	s_and_not1_b32 exec_lo, exec_lo, s14
	s_cbranch_execnz .LBB3_191
.LBB3_192:
	s_or_b32 exec_lo, exec_lo, s9
	s_cvt_f32_u32 s2, s26
	v_readfirstlane_b32 s9, v29
	v_mov_b64_e32 v[6:7], 0
	s_sub_co_i32 s14, 0, s26
	v_rcp_iflag_f32_e32 v1, s2
	v_nop
	s_delay_alu instid0(TRANS32_DEP_1) | instskip(SKIP_1) | instid1(SALU_CYCLE_3)
	v_readfirstlane_b32 s2, v1
	s_mul_f32 s2, s2, 0x4f7ffffe
	s_cvt_u32_f32 s3, s2
	v_cmp_eq_u32_e64 s2, s9, v29
	s_mov_b32 s9, 0
	s_delay_alu instid0(SALU_CYCLE_1) | instskip(NEXT) | instid1(SALU_CYCLE_1)
	s_mul_i32 s14, s14, s3
	s_mul_hi_u32 s14, s3, s14
	s_and_saveexec_b32 s15, s2
	s_cbranch_execz .LBB3_198
; %bb.193:
	v_mov_b32_e32 v1, 0
	s_mov_b32 s16, exec_lo
	global_load_b64 v[4:5], v1, s[12:13] offset:24 scope:SCOPE_SYS
	s_wait_loadcnt 0x0
	global_inv scope:SCOPE_SYS
	s_clause 0x1
	global_load_b64 v[2:3], v1, s[12:13] offset:40
	global_load_b64 v[6:7], v1, s[12:13]
	s_wait_loadcnt 0x1
	v_and_b32_e32 v2, v2, v4
	v_and_b32_e32 v3, v3, v5
	s_delay_alu instid0(VALU_DEP_1) | instskip(SKIP_1) | instid1(VALU_DEP_1)
	v_mul_u64_e32 v[2:3], 24, v[2:3]
	s_wait_loadcnt 0x0
	v_add_nc_u64_e32 v[2:3], v[6:7], v[2:3]
	global_load_b64 v[2:3], v[2:3], off scope:SCOPE_SYS
	s_wait_xcnt 0x0
	s_wait_loadcnt 0x0
	global_atomic_cmpswap_b64 v[6:7], v1, v[2:5], s[12:13] offset:24 th:TH_ATOMIC_RETURN scope:SCOPE_SYS
	s_wait_loadcnt 0x0
	global_inv scope:SCOPE_SYS
	s_wait_xcnt 0x0
	v_cmpx_ne_u64_e64 v[6:7], v[4:5]
	s_cbranch_execz .LBB3_197
; %bb.194:
	s_mov_b32 s17, 0
.LBB3_195:                              ; =>This Inner Loop Header: Depth=1
	s_sleep 1
	s_clause 0x1
	global_load_b64 v[2:3], v1, s[12:13] offset:40
	global_load_b64 v[8:9], v1, s[12:13]
	v_mov_b64_e32 v[4:5], v[6:7]
	s_wait_loadcnt 0x1
	s_delay_alu instid0(VALU_DEP_1) | instskip(SKIP_1) | instid1(VALU_DEP_1)
	v_and_b32_e32 v2, v2, v4
	s_wait_loadcnt 0x0
	v_mad_nc_u64_u32 v[6:7], v2, 24, v[8:9]
	s_delay_alu instid0(VALU_DEP_3) | instskip(NEXT) | instid1(VALU_DEP_1)
	v_and_b32_e32 v2, v3, v5
	v_mad_u32 v7, v2, 24, v7
	global_load_b64 v[2:3], v[6:7], off scope:SCOPE_SYS
	s_wait_xcnt 0x0
	s_wait_loadcnt 0x0
	global_atomic_cmpswap_b64 v[6:7], v1, v[2:5], s[12:13] offset:24 th:TH_ATOMIC_RETURN scope:SCOPE_SYS
	s_wait_loadcnt 0x0
	global_inv scope:SCOPE_SYS
	v_cmp_eq_u64_e32 vcc_lo, v[6:7], v[4:5]
	s_or_b32 s17, vcc_lo, s17
	s_wait_xcnt 0x0
	s_and_not1_b32 exec_lo, exec_lo, s17
	s_cbranch_execnz .LBB3_195
; %bb.196:
	s_or_b32 exec_lo, exec_lo, s17
.LBB3_197:
	s_delay_alu instid0(SALU_CYCLE_1)
	s_or_b32 exec_lo, exec_lo, s16
.LBB3_198:
	s_delay_alu instid0(SALU_CYCLE_1)
	s_or_b32 exec_lo, exec_lo, s15
	v_readfirstlane_b32 s16, v6
	v_mov_b32_e32 v1, 0
	v_readfirstlane_b32 s17, v7
	s_mov_b32 s15, exec_lo
	s_add_co_i32 s14, s3, s14
	s_clause 0x1
	global_load_b64 v[8:9], v1, s[12:13] offset:40
	global_load_b128 v[2:5], v1, s[12:13]
	s_wait_loadcnt 0x1
	v_and_b32_e32 v8, s16, v8
	v_and_b32_e32 v9, s17, v9
	s_delay_alu instid0(VALU_DEP_1) | instskip(SKIP_1) | instid1(VALU_DEP_1)
	v_mul_u64_e32 v[6:7], 24, v[8:9]
	s_wait_loadcnt 0x0
	v_add_nc_u64_e32 v[6:7], v[2:3], v[6:7]
	s_wait_xcnt 0x0
	s_and_saveexec_b32 s3, s2
	s_cbranch_execz .LBB3_200
; %bb.199:
	v_mov_b64_e32 v[12:13], 0x100000002
	v_dual_mov_b32 v10, s15 :: v_dual_mov_b32 v11, v1
	global_store_b128 v[6:7], v[10:13], off offset:8
.LBB3_200:
	s_wait_xcnt 0x0
	s_or_b32 exec_lo, exec_lo, s3
	v_lshlrev_b64_e32 v[8:9], 12, v[8:9]
	s_mov_b32 s20, 0
	v_dual_mov_b32 v10, 33 :: v_dual_mov_b32 v11, v1
	s_mov_b32 s21, s20
	s_mov_b32 s22, s20
	;; [unrolled: 1-line block ×3, first 2 shown]
	s_delay_alu instid0(VALU_DEP_2) | instskip(SKIP_4) | instid1(VALU_DEP_4)
	v_add_nc_u64_e32 v[8:9], v[4:5], v[8:9]
	v_mov_b64_e32 v[14:15], s[20:21]
	v_mov_b64_e32 v[16:17], s[22:23]
	v_dual_mov_b32 v12, v1 :: v_dual_mov_b32 v13, v1
	s_mov_b32 s15, s9
	v_readfirstlane_b32 s18, v8
	v_readfirstlane_b32 s19, v9
	s_clause 0x3
	global_store_b128 v0, v[10:13], s[18:19]
	global_store_b128 v0, v[14:17], s[18:19] offset:16
	global_store_b128 v0, v[14:17], s[18:19] offset:32
	;; [unrolled: 1-line block ×3, first 2 shown]
	s_wait_xcnt 0x0
	s_and_saveexec_b32 s3, s2
	s_cbranch_execz .LBB3_208
; %bb.201:
	v_dual_mov_b32 v12, 0 :: v_dual_mov_b32 v15, s17
	s_mov_b32 s18, exec_lo
	s_clause 0x1
	global_load_b64 v[16:17], v12, s[12:13] offset:32 scope:SCOPE_SYS
	global_load_b64 v[4:5], v12, s[12:13] offset:40
	s_wait_loadcnt 0x0
	v_dual_mov_b32 v14, s16 :: v_dual_bitop2_b32 v5, s17, v5 bitop3:0x40
	v_and_b32_e32 v4, s16, v4
	s_delay_alu instid0(VALU_DEP_1) | instskip(NEXT) | instid1(VALU_DEP_1)
	v_mul_u64_e32 v[4:5], 24, v[4:5]
	v_add_nc_u64_e32 v[10:11], v[2:3], v[4:5]
	global_store_b64 v[10:11], v[16:17], off
	global_wb scope:SCOPE_SYS
	s_wait_storecnt 0x0
	s_wait_xcnt 0x0
	global_atomic_cmpswap_b64 v[4:5], v12, v[14:17], s[12:13] offset:32 th:TH_ATOMIC_RETURN scope:SCOPE_SYS
	s_wait_loadcnt 0x0
	v_cmpx_ne_u64_e64 v[4:5], v[16:17]
	s_cbranch_execz .LBB3_204
; %bb.202:
	s_mov_b32 s19, 0
.LBB3_203:                              ; =>This Inner Loop Header: Depth=1
	v_dual_mov_b32 v2, s16 :: v_dual_mov_b32 v3, s17
	s_sleep 1
	global_store_b64 v[10:11], v[4:5], off
	global_wb scope:SCOPE_SYS
	s_wait_storecnt 0x0
	s_wait_xcnt 0x0
	global_atomic_cmpswap_b64 v[2:3], v12, v[2:5], s[12:13] offset:32 th:TH_ATOMIC_RETURN scope:SCOPE_SYS
	s_wait_loadcnt 0x0
	v_cmp_eq_u64_e32 vcc_lo, v[2:3], v[4:5]
	v_mov_b64_e32 v[4:5], v[2:3]
	s_or_b32 s19, vcc_lo, s19
	s_delay_alu instid0(SALU_CYCLE_1)
	s_and_not1_b32 exec_lo, exec_lo, s19
	s_cbranch_execnz .LBB3_203
.LBB3_204:
	s_or_b32 exec_lo, exec_lo, s18
	v_mov_b32_e32 v5, 0
	s_mov_b32 s19, exec_lo
	s_mov_b32 s18, exec_lo
	v_mbcnt_lo_u32_b32 v4, s19, 0
	global_load_b64 v[2:3], v5, s[12:13] offset:16
	s_wait_xcnt 0x0
	v_cmpx_eq_u32_e32 0, v4
	s_cbranch_execz .LBB3_206
; %bb.205:
	s_bcnt1_i32_b32 s19, s19
	s_delay_alu instid0(SALU_CYCLE_1)
	v_mov_b32_e32 v4, s19
	global_wb scope:SCOPE_SYS
	s_wait_loadcnt 0x0
	s_wait_storecnt 0x0
	global_atomic_add_u64 v[2:3], v[4:5], off offset:8 scope:SCOPE_SYS
.LBB3_206:
	s_wait_xcnt 0x0
	s_or_b32 exec_lo, exec_lo, s18
	s_wait_loadcnt 0x0
	global_load_b64 v[4:5], v[2:3], off offset:16
	s_wait_loadcnt 0x0
	v_cmp_eq_u64_e32 vcc_lo, 0, v[4:5]
	s_cbranch_vccnz .LBB3_208
; %bb.207:
	global_load_b32 v2, v[2:3], off offset:24
	s_wait_xcnt 0x0
	v_mov_b32_e32 v3, 0
	s_wait_loadcnt 0x0
	v_readfirstlane_b32 s18, v2
	global_wb scope:SCOPE_SYS
	s_wait_storecnt 0x0
	global_store_b64 v[4:5], v[2:3], off scope:SCOPE_SYS
	s_and_b32 m0, s18, 0xffffff
	s_sendmsg sendmsg(MSG_INTERRUPT)
.LBB3_208:
	s_wait_xcnt 0x0
	s_or_b32 exec_lo, exec_lo, s3
	v_add_nc_u64_e32 v[2:3], v[8:9], v[0:1]
	s_mul_u64 s[14:15], s[8:9], s[14:15]
	s_branch .LBB3_212
.LBB3_209:                              ;   in Loop: Header=BB3_212 Depth=1
	s_wait_xcnt 0x0
	s_or_b32 exec_lo, exec_lo, s3
	s_delay_alu instid0(VALU_DEP_1)
	v_readfirstlane_b32 s3, v1
	s_cmp_eq_u32 s3, 0
	s_cbranch_scc1 .LBB3_211
; %bb.210:                              ;   in Loop: Header=BB3_212 Depth=1
	s_sleep 1
	s_cbranch_execnz .LBB3_212
	s_branch .LBB3_214
.LBB3_211:
	s_branch .LBB3_214
.LBB3_212:                              ; =>This Inner Loop Header: Depth=1
	v_mov_b32_e32 v1, 1
	s_and_saveexec_b32 s3, s2
	s_cbranch_execz .LBB3_209
; %bb.213:                              ;   in Loop: Header=BB3_212 Depth=1
	global_load_b32 v1, v[6:7], off offset:20 scope:SCOPE_SYS
	s_wait_loadcnt 0x0
	global_inv scope:SCOPE_SYS
	v_and_b32_e32 v1, 1, v1
	s_branch .LBB3_209
.LBB3_214:
	global_load_b64 v[2:3], v[2:3], off
	s_wait_xcnt 0x0
	s_and_saveexec_b32 s9, s2
	s_cbranch_execz .LBB3_218
; %bb.215:
	v_mov_b32_e32 v1, 0
	s_clause 0x2
	global_load_b64 v[4:5], v1, s[12:13] offset:40
	global_load_b64 v[12:13], v1, s[12:13] offset:24 scope:SCOPE_SYS
	global_load_b64 v[6:7], v1, s[12:13]
	s_wait_loadcnt 0x2
	v_readfirstlane_b32 s18, v4
	v_readfirstlane_b32 s19, v5
	s_add_nc_u64 s[2:3], s[18:19], 1
	s_delay_alu instid0(SALU_CYCLE_1) | instskip(NEXT) | instid1(SALU_CYCLE_1)
	s_add_nc_u64 s[16:17], s[2:3], s[16:17]
	s_cmp_eq_u64 s[16:17], 0
	s_cselect_b32 s3, s3, s17
	s_cselect_b32 s2, s2, s16
	v_mov_b32_e32 v11, s3
	s_and_b64 s[16:17], s[2:3], s[18:19]
	v_mov_b32_e32 v10, s2
	s_mul_u64 s[16:17], s[16:17], 24
	s_wait_loadcnt 0x0
	v_add_nc_u64_e32 v[8:9], s[16:17], v[6:7]
	global_store_b64 v[8:9], v[12:13], off
	global_wb scope:SCOPE_SYS
	s_wait_storecnt 0x0
	s_wait_xcnt 0x0
	global_atomic_cmpswap_b64 v[6:7], v1, v[10:13], s[12:13] offset:24 th:TH_ATOMIC_RETURN scope:SCOPE_SYS
	s_wait_loadcnt 0x0
	v_cmp_ne_u64_e32 vcc_lo, v[6:7], v[12:13]
	s_and_b32 exec_lo, exec_lo, vcc_lo
	s_cbranch_execz .LBB3_218
; %bb.216:
	s_mov_b32 s14, 0
.LBB3_217:                              ; =>This Inner Loop Header: Depth=1
	v_dual_mov_b32 v4, s2 :: v_dual_mov_b32 v5, s3
	s_sleep 1
	global_store_b64 v[8:9], v[6:7], off
	global_wb scope:SCOPE_SYS
	s_wait_storecnt 0x0
	s_wait_xcnt 0x0
	global_atomic_cmpswap_b64 v[4:5], v1, v[4:7], s[12:13] offset:24 th:TH_ATOMIC_RETURN scope:SCOPE_SYS
	s_wait_loadcnt 0x0
	v_cmp_eq_u64_e32 vcc_lo, v[4:5], v[6:7]
	v_mov_b64_e32 v[6:7], v[4:5]
	s_or_b32 s14, vcc_lo, s14
	s_delay_alu instid0(SALU_CYCLE_1)
	s_and_not1_b32 exec_lo, exec_lo, s14
	s_cbranch_execnz .LBB3_217
.LBB3_218:
	s_or_b32 exec_lo, exec_lo, s9
	s_get_pc_i64 s[16:17]
	s_add_nc_u64 s[16:17], s[16:17], .str.1@rel64+4
	s_delay_alu instid0(SALU_CYCLE_1)
	s_cmp_lg_u64 s[16:17], 0
	s_cbranch_scc0 .LBB3_297
; %bb.219:
	v_mov_b64_e32 v[10:11], 0x100000002
	s_wait_loadcnt 0x0
	v_dual_mov_b32 v9, 0 :: v_dual_bitop2_b32 v28, 2, v2 bitop3:0x40
	v_dual_mov_b32 v5, v3 :: v_dual_bitop2_b32 v4, -3, v2 bitop3:0x40
	s_mov_b64 s[18:19], 48
	s_branch .LBB3_221
.LBB3_220:                              ;   in Loop: Header=BB3_221 Depth=1
	s_or_b32 exec_lo, exec_lo, s9
	s_sub_nc_u64 s[18:19], s[18:19], s[20:21]
	s_add_nc_u64 s[16:17], s[16:17], s[20:21]
	s_cmp_lg_u64 s[18:19], 0
	s_cbranch_scc0 .LBB3_296
.LBB3_221:                              ; =>This Loop Header: Depth=1
                                        ;     Child Loop BB3_224 Depth 2
                                        ;     Child Loop BB3_231 Depth 2
	;; [unrolled: 1-line block ×11, first 2 shown]
	v_min_u64 v[6:7], s[18:19], 56
	v_cmp_gt_u64_e64 s2, s[18:19], 7
	s_and_b32 vcc_lo, exec_lo, s2
	v_readfirstlane_b32 s20, v6
	v_readfirstlane_b32 s21, v7
	s_cbranch_vccnz .LBB3_226
; %bb.222:                              ;   in Loop: Header=BB3_221 Depth=1
	v_mov_b64_e32 v[6:7], 0
	s_cmp_eq_u64 s[18:19], 0
	s_cbranch_scc1 .LBB3_225
; %bb.223:                              ;   in Loop: Header=BB3_221 Depth=1
	s_mov_b64 s[2:3], 0
	s_mov_b64 s[22:23], 0
.LBB3_224:                              ;   Parent Loop BB3_221 Depth=1
                                        ; =>  This Inner Loop Header: Depth=2
	s_wait_xcnt 0x0
	s_add_nc_u64 s[24:25], s[16:17], s[22:23]
	s_add_nc_u64 s[22:23], s[22:23], 1
	global_load_u8 v1, v9, s[24:25]
	s_cmp_lg_u32 s20, s22
	s_wait_loadcnt 0x0
	v_and_b32_e32 v8, 0xffff, v1
	s_delay_alu instid0(VALU_DEP_1) | instskip(SKIP_1) | instid1(VALU_DEP_1)
	v_lshlrev_b64_e32 v[12:13], s2, v[8:9]
	s_add_nc_u64 s[2:3], s[2:3], 8
	v_or_b32_e32 v6, v12, v6
	s_delay_alu instid0(VALU_DEP_2)
	v_or_b32_e32 v7, v13, v7
	s_cbranch_scc1 .LBB3_224
.LBB3_225:                              ;   in Loop: Header=BB3_221 Depth=1
	s_mov_b64 s[22:23], s[16:17]
	s_mov_b32 s9, 0
	s_cbranch_execz .LBB3_227
	s_branch .LBB3_228
.LBB3_226:                              ;   in Loop: Header=BB3_221 Depth=1
	s_add_nc_u64 s[22:23], s[16:17], 8
                                        ; kill: def $vgpr6_vgpr7 killed $sgpr0_sgpr1 killed $exec
	s_mov_b32 s9, 0
.LBB3_227:                              ;   in Loop: Header=BB3_221 Depth=1
	global_load_b64 v[6:7], v9, s[16:17]
	s_add_co_i32 s9, s20, -8
.LBB3_228:                              ;   in Loop: Header=BB3_221 Depth=1
	s_delay_alu instid0(SALU_CYCLE_1)
	s_cmp_gt_u32 s9, 7
	s_cbranch_scc1 .LBB3_233
; %bb.229:                              ;   in Loop: Header=BB3_221 Depth=1
	v_mov_b64_e32 v[12:13], 0
	s_cmp_eq_u32 s9, 0
	s_cbranch_scc1 .LBB3_232
; %bb.230:                              ;   in Loop: Header=BB3_221 Depth=1
	s_mov_b64 s[2:3], 0
	s_wait_xcnt 0x0
	s_mov_b64 s[24:25], 0
.LBB3_231:                              ;   Parent Loop BB3_221 Depth=1
                                        ; =>  This Inner Loop Header: Depth=2
	s_wait_xcnt 0x0
	s_add_nc_u64 s[28:29], s[22:23], s[24:25]
	s_add_nc_u64 s[24:25], s[24:25], 1
	global_load_u8 v1, v9, s[28:29]
	s_cmp_lg_u32 s9, s24
	s_wait_loadcnt 0x0
	v_and_b32_e32 v8, 0xffff, v1
	s_delay_alu instid0(VALU_DEP_1) | instskip(SKIP_1) | instid1(VALU_DEP_1)
	v_lshlrev_b64_e32 v[14:15], s2, v[8:9]
	s_add_nc_u64 s[2:3], s[2:3], 8
	v_or_b32_e32 v12, v14, v12
	s_delay_alu instid0(VALU_DEP_2)
	v_or_b32_e32 v13, v15, v13
	s_cbranch_scc1 .LBB3_231
.LBB3_232:                              ;   in Loop: Header=BB3_221 Depth=1
	s_mov_b64 s[2:3], s[22:23]
	s_mov_b32 s14, 0
	s_cbranch_execz .LBB3_234
	s_branch .LBB3_235
.LBB3_233:                              ;   in Loop: Header=BB3_221 Depth=1
	s_add_nc_u64 s[2:3], s[22:23], 8
                                        ; implicit-def: $vgpr12_vgpr13
	s_mov_b32 s14, 0
.LBB3_234:                              ;   in Loop: Header=BB3_221 Depth=1
	global_load_b64 v[12:13], v9, s[22:23]
	s_add_co_i32 s14, s9, -8
.LBB3_235:                              ;   in Loop: Header=BB3_221 Depth=1
	s_delay_alu instid0(SALU_CYCLE_1)
	s_cmp_gt_u32 s14, 7
	s_cbranch_scc1 .LBB3_240
; %bb.236:                              ;   in Loop: Header=BB3_221 Depth=1
	v_mov_b64_e32 v[14:15], 0
	s_cmp_eq_u32 s14, 0
	s_cbranch_scc1 .LBB3_239
; %bb.237:                              ;   in Loop: Header=BB3_221 Depth=1
	s_wait_xcnt 0x0
	s_mov_b64 s[22:23], 0
	s_mov_b64 s[24:25], 0
.LBB3_238:                              ;   Parent Loop BB3_221 Depth=1
                                        ; =>  This Inner Loop Header: Depth=2
	s_wait_xcnt 0x0
	s_add_nc_u64 s[28:29], s[2:3], s[24:25]
	s_add_nc_u64 s[24:25], s[24:25], 1
	global_load_u8 v1, v9, s[28:29]
	s_cmp_lg_u32 s14, s24
	s_wait_loadcnt 0x0
	v_and_b32_e32 v8, 0xffff, v1
	s_delay_alu instid0(VALU_DEP_1) | instskip(SKIP_1) | instid1(VALU_DEP_1)
	v_lshlrev_b64_e32 v[16:17], s22, v[8:9]
	s_add_nc_u64 s[22:23], s[22:23], 8
	v_or_b32_e32 v14, v16, v14
	s_delay_alu instid0(VALU_DEP_2)
	v_or_b32_e32 v15, v17, v15
	s_cbranch_scc1 .LBB3_238
.LBB3_239:                              ;   in Loop: Header=BB3_221 Depth=1
	s_wait_xcnt 0x0
	s_mov_b64 s[22:23], s[2:3]
	s_mov_b32 s9, 0
	s_cbranch_execz .LBB3_241
	s_branch .LBB3_242
.LBB3_240:                              ;   in Loop: Header=BB3_221 Depth=1
	s_wait_xcnt 0x0
	s_add_nc_u64 s[22:23], s[2:3], 8
                                        ; kill: def $vgpr14_vgpr15 killed $sgpr0_sgpr1 killed $exec
	s_mov_b32 s9, 0
.LBB3_241:                              ;   in Loop: Header=BB3_221 Depth=1
	global_load_b64 v[14:15], v9, s[2:3]
	s_add_co_i32 s9, s14, -8
.LBB3_242:                              ;   in Loop: Header=BB3_221 Depth=1
	s_delay_alu instid0(SALU_CYCLE_1)
	s_cmp_gt_u32 s9, 7
	s_cbranch_scc1 .LBB3_247
; %bb.243:                              ;   in Loop: Header=BB3_221 Depth=1
	v_mov_b64_e32 v[16:17], 0
	s_cmp_eq_u32 s9, 0
	s_cbranch_scc1 .LBB3_246
; %bb.244:                              ;   in Loop: Header=BB3_221 Depth=1
	s_wait_xcnt 0x0
	s_mov_b64 s[2:3], 0
	s_mov_b64 s[24:25], 0
.LBB3_245:                              ;   Parent Loop BB3_221 Depth=1
                                        ; =>  This Inner Loop Header: Depth=2
	s_wait_xcnt 0x0
	s_add_nc_u64 s[28:29], s[22:23], s[24:25]
	s_add_nc_u64 s[24:25], s[24:25], 1
	global_load_u8 v1, v9, s[28:29]
	s_cmp_lg_u32 s9, s24
	s_wait_loadcnt 0x0
	v_and_b32_e32 v8, 0xffff, v1
	s_delay_alu instid0(VALU_DEP_1) | instskip(SKIP_1) | instid1(VALU_DEP_1)
	v_lshlrev_b64_e32 v[18:19], s2, v[8:9]
	s_add_nc_u64 s[2:3], s[2:3], 8
	v_or_b32_e32 v16, v18, v16
	s_delay_alu instid0(VALU_DEP_2)
	v_or_b32_e32 v17, v19, v17
	s_cbranch_scc1 .LBB3_245
.LBB3_246:                              ;   in Loop: Header=BB3_221 Depth=1
	s_wait_xcnt 0x0
	s_mov_b64 s[2:3], s[22:23]
	s_mov_b32 s14, 0
	s_cbranch_execz .LBB3_248
	s_branch .LBB3_249
.LBB3_247:                              ;   in Loop: Header=BB3_221 Depth=1
	s_wait_xcnt 0x0
	s_add_nc_u64 s[2:3], s[22:23], 8
                                        ; implicit-def: $vgpr16_vgpr17
	s_mov_b32 s14, 0
.LBB3_248:                              ;   in Loop: Header=BB3_221 Depth=1
	global_load_b64 v[16:17], v9, s[22:23]
	s_add_co_i32 s14, s9, -8
.LBB3_249:                              ;   in Loop: Header=BB3_221 Depth=1
	s_delay_alu instid0(SALU_CYCLE_1)
	s_cmp_gt_u32 s14, 7
	s_cbranch_scc1 .LBB3_254
; %bb.250:                              ;   in Loop: Header=BB3_221 Depth=1
	v_mov_b64_e32 v[18:19], 0
	s_cmp_eq_u32 s14, 0
	s_cbranch_scc1 .LBB3_253
; %bb.251:                              ;   in Loop: Header=BB3_221 Depth=1
	s_wait_xcnt 0x0
	s_mov_b64 s[22:23], 0
	s_mov_b64 s[24:25], 0
.LBB3_252:                              ;   Parent Loop BB3_221 Depth=1
                                        ; =>  This Inner Loop Header: Depth=2
	s_wait_xcnt 0x0
	s_add_nc_u64 s[28:29], s[2:3], s[24:25]
	s_add_nc_u64 s[24:25], s[24:25], 1
	global_load_u8 v1, v9, s[28:29]
	s_cmp_lg_u32 s14, s24
	s_wait_loadcnt 0x0
	v_and_b32_e32 v8, 0xffff, v1
	s_delay_alu instid0(VALU_DEP_1) | instskip(SKIP_1) | instid1(VALU_DEP_1)
	v_lshlrev_b64_e32 v[20:21], s22, v[8:9]
	s_add_nc_u64 s[22:23], s[22:23], 8
	v_or_b32_e32 v18, v20, v18
	s_delay_alu instid0(VALU_DEP_2)
	v_or_b32_e32 v19, v21, v19
	s_cbranch_scc1 .LBB3_252
.LBB3_253:                              ;   in Loop: Header=BB3_221 Depth=1
	s_wait_xcnt 0x0
	s_mov_b64 s[22:23], s[2:3]
	s_mov_b32 s9, 0
	s_cbranch_execz .LBB3_255
	s_branch .LBB3_256
.LBB3_254:                              ;   in Loop: Header=BB3_221 Depth=1
	s_wait_xcnt 0x0
	s_add_nc_u64 s[22:23], s[2:3], 8
                                        ; kill: def $vgpr18_vgpr19 killed $sgpr0_sgpr1 killed $exec
	s_mov_b32 s9, 0
.LBB3_255:                              ;   in Loop: Header=BB3_221 Depth=1
	global_load_b64 v[18:19], v9, s[2:3]
	s_add_co_i32 s9, s14, -8
.LBB3_256:                              ;   in Loop: Header=BB3_221 Depth=1
	s_delay_alu instid0(SALU_CYCLE_1)
	s_cmp_gt_u32 s9, 7
	s_cbranch_scc1 .LBB3_261
; %bb.257:                              ;   in Loop: Header=BB3_221 Depth=1
	v_mov_b64_e32 v[20:21], 0
	s_cmp_eq_u32 s9, 0
	s_cbranch_scc1 .LBB3_260
; %bb.258:                              ;   in Loop: Header=BB3_221 Depth=1
	s_wait_xcnt 0x0
	s_mov_b64 s[2:3], 0
	s_mov_b64 s[24:25], 0
.LBB3_259:                              ;   Parent Loop BB3_221 Depth=1
                                        ; =>  This Inner Loop Header: Depth=2
	s_wait_xcnt 0x0
	s_add_nc_u64 s[28:29], s[22:23], s[24:25]
	s_add_nc_u64 s[24:25], s[24:25], 1
	global_load_u8 v1, v9, s[28:29]
	s_cmp_lg_u32 s9, s24
	s_wait_loadcnt 0x0
	v_and_b32_e32 v8, 0xffff, v1
	s_delay_alu instid0(VALU_DEP_1) | instskip(SKIP_1) | instid1(VALU_DEP_1)
	v_lshlrev_b64_e32 v[22:23], s2, v[8:9]
	s_add_nc_u64 s[2:3], s[2:3], 8
	v_or_b32_e32 v20, v22, v20
	s_delay_alu instid0(VALU_DEP_2)
	v_or_b32_e32 v21, v23, v21
	s_cbranch_scc1 .LBB3_259
.LBB3_260:                              ;   in Loop: Header=BB3_221 Depth=1
	s_wait_xcnt 0x0
	s_mov_b64 s[2:3], s[22:23]
	s_mov_b32 s14, 0
	s_cbranch_execz .LBB3_262
	s_branch .LBB3_263
.LBB3_261:                              ;   in Loop: Header=BB3_221 Depth=1
	s_wait_xcnt 0x0
	s_add_nc_u64 s[2:3], s[22:23], 8
                                        ; implicit-def: $vgpr20_vgpr21
	s_mov_b32 s14, 0
.LBB3_262:                              ;   in Loop: Header=BB3_221 Depth=1
	global_load_b64 v[20:21], v9, s[22:23]
	s_add_co_i32 s14, s9, -8
.LBB3_263:                              ;   in Loop: Header=BB3_221 Depth=1
	s_delay_alu instid0(SALU_CYCLE_1)
	s_cmp_gt_u32 s14, 7
	s_cbranch_scc1 .LBB3_268
; %bb.264:                              ;   in Loop: Header=BB3_221 Depth=1
	v_mov_b64_e32 v[22:23], 0
	s_cmp_eq_u32 s14, 0
	s_cbranch_scc1 .LBB3_267
; %bb.265:                              ;   in Loop: Header=BB3_221 Depth=1
	s_wait_xcnt 0x0
	s_mov_b64 s[22:23], 0
	s_mov_b64 s[24:25], s[2:3]
.LBB3_266:                              ;   Parent Loop BB3_221 Depth=1
                                        ; =>  This Inner Loop Header: Depth=2
	global_load_u8 v1, v9, s[24:25]
	s_add_co_i32 s14, s14, -1
	s_wait_xcnt 0x0
	s_add_nc_u64 s[24:25], s[24:25], 1
	s_cmp_lg_u32 s14, 0
	s_wait_loadcnt 0x0
	v_and_b32_e32 v8, 0xffff, v1
	s_delay_alu instid0(VALU_DEP_1) | instskip(SKIP_1) | instid1(VALU_DEP_1)
	v_lshlrev_b64_e32 v[24:25], s22, v[8:9]
	s_add_nc_u64 s[22:23], s[22:23], 8
	v_or_b32_e32 v22, v24, v22
	s_delay_alu instid0(VALU_DEP_2)
	v_or_b32_e32 v23, v25, v23
	s_cbranch_scc1 .LBB3_266
.LBB3_267:                              ;   in Loop: Header=BB3_221 Depth=1
	s_cbranch_execz .LBB3_269
	s_branch .LBB3_270
.LBB3_268:                              ;   in Loop: Header=BB3_221 Depth=1
                                        ; kill: def $vgpr22_vgpr23 killed $sgpr0_sgpr1 killed $exec
.LBB3_269:                              ;   in Loop: Header=BB3_221 Depth=1
	global_load_b64 v[22:23], v9, s[2:3]
.LBB3_270:                              ;   in Loop: Header=BB3_221 Depth=1
	s_wait_xcnt 0x0
	v_readfirstlane_b32 s2, v29
	v_mov_b64_e32 v[30:31], 0
	s_delay_alu instid0(VALU_DEP_2)
	v_cmp_eq_u32_e64 s2, s2, v29
	s_and_saveexec_b32 s3, s2
	s_cbranch_execz .LBB3_276
; %bb.271:                              ;   in Loop: Header=BB3_221 Depth=1
	global_load_b64 v[26:27], v9, s[12:13] offset:24 scope:SCOPE_SYS
	s_wait_loadcnt 0x0
	global_inv scope:SCOPE_SYS
	s_clause 0x1
	global_load_b64 v[24:25], v9, s[12:13] offset:40
	global_load_b64 v[30:31], v9, s[12:13]
	s_mov_b32 s9, exec_lo
	s_wait_loadcnt 0x1
	v_and_b32_e32 v24, v24, v26
	v_and_b32_e32 v25, v25, v27
	s_delay_alu instid0(VALU_DEP_1) | instskip(SKIP_1) | instid1(VALU_DEP_1)
	v_mul_u64_e32 v[24:25], 24, v[24:25]
	s_wait_loadcnt 0x0
	v_add_nc_u64_e32 v[24:25], v[30:31], v[24:25]
	global_load_b64 v[24:25], v[24:25], off scope:SCOPE_SYS
	s_wait_xcnt 0x0
	s_wait_loadcnt 0x0
	global_atomic_cmpswap_b64 v[30:31], v9, v[24:27], s[12:13] offset:24 th:TH_ATOMIC_RETURN scope:SCOPE_SYS
	s_wait_loadcnt 0x0
	global_inv scope:SCOPE_SYS
	s_wait_xcnt 0x0
	v_cmpx_ne_u64_e64 v[30:31], v[26:27]
	s_cbranch_execz .LBB3_275
; %bb.272:                              ;   in Loop: Header=BB3_221 Depth=1
	s_mov_b32 s14, 0
.LBB3_273:                              ;   Parent Loop BB3_221 Depth=1
                                        ; =>  This Inner Loop Header: Depth=2
	s_sleep 1
	s_clause 0x1
	global_load_b64 v[24:25], v9, s[12:13] offset:40
	global_load_b64 v[32:33], v9, s[12:13]
	v_mov_b64_e32 v[26:27], v[30:31]
	s_wait_loadcnt 0x1
	s_delay_alu instid0(VALU_DEP_1) | instskip(SKIP_1) | instid1(VALU_DEP_1)
	v_and_b32_e32 v1, v24, v26
	s_wait_loadcnt 0x0
	v_mad_nc_u64_u32 v[30:31], v1, 24, v[32:33]
	s_delay_alu instid0(VALU_DEP_3) | instskip(NEXT) | instid1(VALU_DEP_1)
	v_and_b32_e32 v1, v25, v27
	v_mad_u32 v31, v1, 24, v31
	global_load_b64 v[24:25], v[30:31], off scope:SCOPE_SYS
	s_wait_xcnt 0x0
	s_wait_loadcnt 0x0
	global_atomic_cmpswap_b64 v[30:31], v9, v[24:27], s[12:13] offset:24 th:TH_ATOMIC_RETURN scope:SCOPE_SYS
	s_wait_loadcnt 0x0
	global_inv scope:SCOPE_SYS
	v_cmp_eq_u64_e32 vcc_lo, v[30:31], v[26:27]
	s_or_b32 s14, vcc_lo, s14
	s_wait_xcnt 0x0
	s_and_not1_b32 exec_lo, exec_lo, s14
	s_cbranch_execnz .LBB3_273
; %bb.274:                              ;   in Loop: Header=BB3_221 Depth=1
	s_or_b32 exec_lo, exec_lo, s14
.LBB3_275:                              ;   in Loop: Header=BB3_221 Depth=1
	s_delay_alu instid0(SALU_CYCLE_1)
	s_or_b32 exec_lo, exec_lo, s9
.LBB3_276:                              ;   in Loop: Header=BB3_221 Depth=1
	s_delay_alu instid0(SALU_CYCLE_1)
	s_or_b32 exec_lo, exec_lo, s3
	s_clause 0x1
	global_load_b64 v[32:33], v9, s[12:13] offset:40
	global_load_b128 v[24:27], v9, s[12:13]
	v_readfirstlane_b32 s22, v30
	v_readfirstlane_b32 s23, v31
	s_mov_b32 s3, exec_lo
	s_wait_loadcnt 0x1
	v_and_b32_e32 v32, s22, v32
	v_and_b32_e32 v33, s23, v33
	s_delay_alu instid0(VALU_DEP_1) | instskip(SKIP_1) | instid1(VALU_DEP_1)
	v_mul_u64_e32 v[30:31], 24, v[32:33]
	s_wait_loadcnt 0x0
	v_add_nc_u64_e32 v[30:31], v[24:25], v[30:31]
	s_wait_xcnt 0x0
	s_and_saveexec_b32 s9, s2
	s_cbranch_execz .LBB3_278
; %bb.277:                              ;   in Loop: Header=BB3_221 Depth=1
	v_mov_b32_e32 v8, s3
	global_store_b128 v[30:31], v[8:11], off offset:8
.LBB3_278:                              ;   in Loop: Header=BB3_221 Depth=1
	s_wait_xcnt 0x0
	s_or_b32 exec_lo, exec_lo, s9
	v_cmp_lt_u64_e64 vcc_lo, s[18:19], 57
	v_lshlrev_b64_e32 v[32:33], 12, v[32:33]
	v_and_b32_e32 v4, 0xffffff1f, v4
	s_lshl_b32 s3, s20, 2
	s_delay_alu instid0(SALU_CYCLE_1) | instskip(SKIP_1) | instid1(VALU_DEP_3)
	s_add_co_i32 s3, s3, 28
	v_cndmask_b32_e32 v1, 0, v28, vcc_lo
	v_add_nc_u64_e32 v[26:27], v[26:27], v[32:33]
	s_delay_alu instid0(VALU_DEP_2) | instskip(NEXT) | instid1(VALU_DEP_2)
	v_or_b32_e32 v1, v4, v1
	v_readfirstlane_b32 s24, v26
	s_delay_alu instid0(VALU_DEP_3) | instskip(NEXT) | instid1(VALU_DEP_3)
	v_readfirstlane_b32 s25, v27
	v_and_or_b32 v4, 0x1e0, s3, v1
	s_clause 0x3
	global_store_b128 v0, v[4:7], s[24:25]
	global_store_b128 v0, v[12:15], s[24:25] offset:16
	global_store_b128 v0, v[16:19], s[24:25] offset:32
	;; [unrolled: 1-line block ×3, first 2 shown]
	s_wait_xcnt 0x0
	s_and_saveexec_b32 s3, s2
	s_cbranch_execz .LBB3_286
; %bb.279:                              ;   in Loop: Header=BB3_221 Depth=1
	s_clause 0x1
	global_load_b64 v[16:17], v9, s[12:13] offset:32 scope:SCOPE_SYS
	global_load_b64 v[4:5], v9, s[12:13] offset:40
	s_mov_b32 s9, exec_lo
	v_dual_mov_b32 v14, s22 :: v_dual_mov_b32 v15, s23
	s_wait_loadcnt 0x0
	v_and_b32_e32 v5, s23, v5
	v_and_b32_e32 v4, s22, v4
	s_delay_alu instid0(VALU_DEP_1) | instskip(NEXT) | instid1(VALU_DEP_1)
	v_mul_u64_e32 v[4:5], 24, v[4:5]
	v_add_nc_u64_e32 v[12:13], v[24:25], v[4:5]
	global_store_b64 v[12:13], v[16:17], off
	global_wb scope:SCOPE_SYS
	s_wait_storecnt 0x0
	s_wait_xcnt 0x0
	global_atomic_cmpswap_b64 v[6:7], v9, v[14:17], s[12:13] offset:32 th:TH_ATOMIC_RETURN scope:SCOPE_SYS
	s_wait_loadcnt 0x0
	v_cmpx_ne_u64_e64 v[6:7], v[16:17]
	s_cbranch_execz .LBB3_282
; %bb.280:                              ;   in Loop: Header=BB3_221 Depth=1
	s_mov_b32 s14, 0
.LBB3_281:                              ;   Parent Loop BB3_221 Depth=1
                                        ; =>  This Inner Loop Header: Depth=2
	v_dual_mov_b32 v4, s22 :: v_dual_mov_b32 v5, s23
	s_sleep 1
	global_store_b64 v[12:13], v[6:7], off
	global_wb scope:SCOPE_SYS
	s_wait_storecnt 0x0
	s_wait_xcnt 0x0
	global_atomic_cmpswap_b64 v[4:5], v9, v[4:7], s[12:13] offset:32 th:TH_ATOMIC_RETURN scope:SCOPE_SYS
	s_wait_loadcnt 0x0
	v_cmp_eq_u64_e32 vcc_lo, v[4:5], v[6:7]
	v_mov_b64_e32 v[6:7], v[4:5]
	s_or_b32 s14, vcc_lo, s14
	s_delay_alu instid0(SALU_CYCLE_1)
	s_and_not1_b32 exec_lo, exec_lo, s14
	s_cbranch_execnz .LBB3_281
.LBB3_282:                              ;   in Loop: Header=BB3_221 Depth=1
	s_or_b32 exec_lo, exec_lo, s9
	global_load_b64 v[4:5], v9, s[12:13] offset:16
	s_mov_b32 s14, exec_lo
	s_mov_b32 s9, exec_lo
	v_mbcnt_lo_u32_b32 v1, s14, 0
	s_wait_xcnt 0x0
	s_delay_alu instid0(VALU_DEP_1)
	v_cmpx_eq_u32_e32 0, v1
	s_cbranch_execz .LBB3_284
; %bb.283:                              ;   in Loop: Header=BB3_221 Depth=1
	s_bcnt1_i32_b32 s14, s14
	s_delay_alu instid0(SALU_CYCLE_1)
	v_mov_b32_e32 v8, s14
	global_wb scope:SCOPE_SYS
	s_wait_loadcnt 0x0
	s_wait_storecnt 0x0
	global_atomic_add_u64 v[4:5], v[8:9], off offset:8 scope:SCOPE_SYS
.LBB3_284:                              ;   in Loop: Header=BB3_221 Depth=1
	s_wait_xcnt 0x0
	s_or_b32 exec_lo, exec_lo, s9
	s_wait_loadcnt 0x0
	global_load_b64 v[6:7], v[4:5], off offset:16
	s_wait_loadcnt 0x0
	v_cmp_eq_u64_e32 vcc_lo, 0, v[6:7]
	s_cbranch_vccnz .LBB3_286
; %bb.285:                              ;   in Loop: Header=BB3_221 Depth=1
	global_load_b32 v8, v[4:5], off offset:24
	s_wait_loadcnt 0x0
	v_readfirstlane_b32 s9, v8
	global_wb scope:SCOPE_SYS
	s_wait_storecnt 0x0
	s_wait_xcnt 0x0
	global_store_b64 v[6:7], v[8:9], off scope:SCOPE_SYS
	s_and_b32 m0, s9, 0xffffff
	s_sendmsg sendmsg(MSG_INTERRUPT)
.LBB3_286:                              ;   in Loop: Header=BB3_221 Depth=1
	s_wait_xcnt 0x0
	s_or_b32 exec_lo, exec_lo, s3
	v_mov_b32_e32 v1, v9
	s_delay_alu instid0(VALU_DEP_1)
	v_add_nc_u64_e32 v[4:5], v[26:27], v[0:1]
	s_branch .LBB3_290
.LBB3_287:                              ;   in Loop: Header=BB3_290 Depth=2
	s_wait_xcnt 0x0
	s_or_b32 exec_lo, exec_lo, s3
	s_delay_alu instid0(VALU_DEP_1)
	v_readfirstlane_b32 s3, v1
	s_cmp_eq_u32 s3, 0
	s_cbranch_scc1 .LBB3_289
; %bb.288:                              ;   in Loop: Header=BB3_290 Depth=2
	s_sleep 1
	s_cbranch_execnz .LBB3_290
	s_branch .LBB3_292
.LBB3_289:                              ;   in Loop: Header=BB3_221 Depth=1
	s_branch .LBB3_292
.LBB3_290:                              ;   Parent Loop BB3_221 Depth=1
                                        ; =>  This Inner Loop Header: Depth=2
	v_mov_b32_e32 v1, 1
	s_and_saveexec_b32 s3, s2
	s_cbranch_execz .LBB3_287
; %bb.291:                              ;   in Loop: Header=BB3_290 Depth=2
	global_load_b32 v1, v[30:31], off offset:20 scope:SCOPE_SYS
	s_wait_loadcnt 0x0
	global_inv scope:SCOPE_SYS
	v_and_b32_e32 v1, 1, v1
	s_branch .LBB3_287
.LBB3_292:                              ;   in Loop: Header=BB3_221 Depth=1
	global_load_b64 v[4:5], v[4:5], off
	s_wait_xcnt 0x0
	s_and_saveexec_b32 s9, s2
	s_cbranch_execz .LBB3_220
; %bb.293:                              ;   in Loop: Header=BB3_221 Depth=1
	s_clause 0x2
	global_load_b64 v[6:7], v9, s[12:13] offset:40
	global_load_b64 v[16:17], v9, s[12:13] offset:24 scope:SCOPE_SYS
	global_load_b64 v[12:13], v9, s[12:13]
	s_wait_loadcnt 0x2
	v_readfirstlane_b32 s24, v6
	v_readfirstlane_b32 s25, v7
	s_add_nc_u64 s[2:3], s[24:25], 1
	s_delay_alu instid0(SALU_CYCLE_1) | instskip(NEXT) | instid1(SALU_CYCLE_1)
	s_add_nc_u64 s[22:23], s[2:3], s[22:23]
	s_cmp_eq_u64 s[22:23], 0
	s_cselect_b32 s3, s3, s23
	s_cselect_b32 s2, s2, s22
	s_delay_alu instid0(SALU_CYCLE_1) | instskip(SKIP_1) | instid1(SALU_CYCLE_1)
	v_dual_mov_b32 v15, s3 :: v_dual_mov_b32 v14, s2
	s_and_b64 s[22:23], s[2:3], s[24:25]
	s_mul_u64 s[22:23], s[22:23], 24
	s_wait_loadcnt 0x0
	v_add_nc_u64_e32 v[6:7], s[22:23], v[12:13]
	global_store_b64 v[6:7], v[16:17], off
	global_wb scope:SCOPE_SYS
	s_wait_storecnt 0x0
	s_wait_xcnt 0x0
	global_atomic_cmpswap_b64 v[14:15], v9, v[14:17], s[12:13] offset:24 th:TH_ATOMIC_RETURN scope:SCOPE_SYS
	s_wait_loadcnt 0x0
	v_cmp_ne_u64_e32 vcc_lo, v[14:15], v[16:17]
	s_and_b32 exec_lo, exec_lo, vcc_lo
	s_cbranch_execz .LBB3_220
; %bb.294:                              ;   in Loop: Header=BB3_221 Depth=1
	s_mov_b32 s14, 0
.LBB3_295:                              ;   Parent Loop BB3_221 Depth=1
                                        ; =>  This Inner Loop Header: Depth=2
	v_dual_mov_b32 v12, s2 :: v_dual_mov_b32 v13, s3
	s_sleep 1
	global_store_b64 v[6:7], v[14:15], off
	global_wb scope:SCOPE_SYS
	s_wait_storecnt 0x0
	s_wait_xcnt 0x0
	global_atomic_cmpswap_b64 v[12:13], v9, v[12:15], s[12:13] offset:24 th:TH_ATOMIC_RETURN scope:SCOPE_SYS
	s_wait_loadcnt 0x0
	v_cmp_eq_u64_e32 vcc_lo, v[12:13], v[14:15]
	v_mov_b64_e32 v[14:15], v[12:13]
	s_or_b32 s14, vcc_lo, s14
	s_delay_alu instid0(SALU_CYCLE_1)
	s_and_not1_b32 exec_lo, exec_lo, s14
	s_cbranch_execnz .LBB3_295
	s_branch .LBB3_220
.LBB3_296:
	s_branch .LBB3_325
.LBB3_297:
                                        ; implicit-def: $vgpr4_vgpr5
	s_cbranch_execz .LBB3_325
; %bb.298:
	v_readfirstlane_b32 s2, v29
	s_wait_loadcnt 0x0
	v_mov_b64_e32 v[4:5], 0
	s_delay_alu instid0(VALU_DEP_2)
	v_cmp_eq_u32_e64 s2, s2, v29
	s_and_saveexec_b32 s3, s2
	s_cbranch_execz .LBB3_304
; %bb.299:
	v_mov_b32_e32 v1, 0
	s_mov_b32 s9, exec_lo
	global_load_b64 v[6:7], v1, s[12:13] offset:24 scope:SCOPE_SYS
	s_wait_loadcnt 0x0
	global_inv scope:SCOPE_SYS
	s_clause 0x1
	global_load_b64 v[4:5], v1, s[12:13] offset:40
	global_load_b64 v[8:9], v1, s[12:13]
	s_wait_loadcnt 0x1
	v_and_b32_e32 v4, v4, v6
	v_and_b32_e32 v5, v5, v7
	s_delay_alu instid0(VALU_DEP_1) | instskip(SKIP_1) | instid1(VALU_DEP_1)
	v_mul_u64_e32 v[4:5], 24, v[4:5]
	s_wait_loadcnt 0x0
	v_add_nc_u64_e32 v[4:5], v[8:9], v[4:5]
	global_load_b64 v[4:5], v[4:5], off scope:SCOPE_SYS
	s_wait_xcnt 0x0
	s_wait_loadcnt 0x0
	global_atomic_cmpswap_b64 v[4:5], v1, v[4:7], s[12:13] offset:24 th:TH_ATOMIC_RETURN scope:SCOPE_SYS
	s_wait_loadcnt 0x0
	global_inv scope:SCOPE_SYS
	s_wait_xcnt 0x0
	v_cmpx_ne_u64_e64 v[4:5], v[6:7]
	s_cbranch_execz .LBB3_303
; %bb.300:
	s_mov_b32 s14, 0
.LBB3_301:                              ; =>This Inner Loop Header: Depth=1
	s_sleep 1
	s_clause 0x1
	global_load_b64 v[8:9], v1, s[12:13] offset:40
	global_load_b64 v[10:11], v1, s[12:13]
	v_mov_b64_e32 v[6:7], v[4:5]
	s_wait_loadcnt 0x1
	s_delay_alu instid0(VALU_DEP_1) | instskip(NEXT) | instid1(VALU_DEP_2)
	v_and_b32_e32 v4, v8, v6
	v_and_b32_e32 v8, v9, v7
	s_wait_loadcnt 0x0
	s_delay_alu instid0(VALU_DEP_2) | instskip(NEXT) | instid1(VALU_DEP_1)
	v_mad_nc_u64_u32 v[4:5], v4, 24, v[10:11]
	v_mad_u32 v5, v8, 24, v5
	global_load_b64 v[4:5], v[4:5], off scope:SCOPE_SYS
	s_wait_xcnt 0x0
	s_wait_loadcnt 0x0
	global_atomic_cmpswap_b64 v[4:5], v1, v[4:7], s[12:13] offset:24 th:TH_ATOMIC_RETURN scope:SCOPE_SYS
	s_wait_loadcnt 0x0
	global_inv scope:SCOPE_SYS
	v_cmp_eq_u64_e32 vcc_lo, v[4:5], v[6:7]
	s_or_b32 s14, vcc_lo, s14
	s_wait_xcnt 0x0
	s_and_not1_b32 exec_lo, exec_lo, s14
	s_cbranch_execnz .LBB3_301
; %bb.302:
	s_or_b32 exec_lo, exec_lo, s14
.LBB3_303:
	s_delay_alu instid0(SALU_CYCLE_1)
	s_or_b32 exec_lo, exec_lo, s9
.LBB3_304:
	s_delay_alu instid0(SALU_CYCLE_1)
	s_or_b32 exec_lo, exec_lo, s3
	v_readfirstlane_b32 s16, v4
	v_mov_b32_e32 v1, 0
	v_readfirstlane_b32 s17, v5
	s_mov_b32 s3, exec_lo
	s_clause 0x1
	global_load_b64 v[10:11], v1, s[12:13] offset:40
	global_load_b128 v[6:9], v1, s[12:13]
	s_wait_loadcnt 0x1
	v_and_b32_e32 v4, s16, v10
	v_and_b32_e32 v5, s17, v11
	s_delay_alu instid0(VALU_DEP_1) | instskip(SKIP_1) | instid1(VALU_DEP_1)
	v_mul_u64_e32 v[10:11], 24, v[4:5]
	s_wait_loadcnt 0x0
	v_add_nc_u64_e32 v[10:11], v[6:7], v[10:11]
	s_wait_xcnt 0x0
	s_and_saveexec_b32 s9, s2
	s_cbranch_execz .LBB3_306
; %bb.305:
	v_mov_b64_e32 v[14:15], 0x100000002
	v_dual_mov_b32 v12, s3 :: v_dual_mov_b32 v13, v1
	global_store_b128 v[10:11], v[12:15], off offset:8
.LBB3_306:
	s_wait_xcnt 0x0
	s_or_b32 exec_lo, exec_lo, s9
	v_lshlrev_b64_e32 v[4:5], 12, v[4:5]
	s_mov_b32 s20, 0
	v_and_or_b32 v2, 0xffffff1f, v2, 32
	s_mov_b32 s21, s20
	s_mov_b32 s22, s20
	;; [unrolled: 1-line block ×3, first 2 shown]
	v_mov_b64_e32 v[12:13], s[20:21]
	v_add_nc_u64_e32 v[8:9], v[8:9], v[4:5]
	v_mov_b64_e32 v[14:15], s[22:23]
	v_dual_mov_b32 v4, v1 :: v_dual_mov_b32 v5, v1
	s_delay_alu instid0(VALU_DEP_3) | instskip(NEXT) | instid1(VALU_DEP_4)
	v_readfirstlane_b32 s18, v8
	v_readfirstlane_b32 s19, v9
	s_clause 0x3
	global_store_b128 v0, v[2:5], s[18:19]
	global_store_b128 v0, v[12:15], s[18:19] offset:16
	global_store_b128 v0, v[12:15], s[18:19] offset:32
	;; [unrolled: 1-line block ×3, first 2 shown]
	s_wait_xcnt 0x0
	s_and_saveexec_b32 s3, s2
	s_cbranch_execz .LBB3_314
; %bb.307:
	v_dual_mov_b32 v12, 0 :: v_dual_mov_b32 v15, s17
	s_mov_b32 s9, exec_lo
	s_clause 0x1
	global_load_b64 v[16:17], v12, s[12:13] offset:32 scope:SCOPE_SYS
	global_load_b64 v[2:3], v12, s[12:13] offset:40
	s_wait_loadcnt 0x0
	v_dual_mov_b32 v14, s16 :: v_dual_bitop2_b32 v3, s17, v3 bitop3:0x40
	v_and_b32_e32 v2, s16, v2
	s_delay_alu instid0(VALU_DEP_1) | instskip(NEXT) | instid1(VALU_DEP_1)
	v_mul_u64_e32 v[2:3], 24, v[2:3]
	v_add_nc_u64_e32 v[6:7], v[6:7], v[2:3]
	global_store_b64 v[6:7], v[16:17], off
	global_wb scope:SCOPE_SYS
	s_wait_storecnt 0x0
	s_wait_xcnt 0x0
	global_atomic_cmpswap_b64 v[4:5], v12, v[14:17], s[12:13] offset:32 th:TH_ATOMIC_RETURN scope:SCOPE_SYS
	s_wait_loadcnt 0x0
	v_cmpx_ne_u64_e64 v[4:5], v[16:17]
	s_cbranch_execz .LBB3_310
; %bb.308:
	s_mov_b32 s14, 0
.LBB3_309:                              ; =>This Inner Loop Header: Depth=1
	v_dual_mov_b32 v2, s16 :: v_dual_mov_b32 v3, s17
	s_sleep 1
	global_store_b64 v[6:7], v[4:5], off
	global_wb scope:SCOPE_SYS
	s_wait_storecnt 0x0
	s_wait_xcnt 0x0
	global_atomic_cmpswap_b64 v[2:3], v12, v[2:5], s[12:13] offset:32 th:TH_ATOMIC_RETURN scope:SCOPE_SYS
	s_wait_loadcnt 0x0
	v_cmp_eq_u64_e32 vcc_lo, v[2:3], v[4:5]
	v_mov_b64_e32 v[4:5], v[2:3]
	s_or_b32 s14, vcc_lo, s14
	s_delay_alu instid0(SALU_CYCLE_1)
	s_and_not1_b32 exec_lo, exec_lo, s14
	s_cbranch_execnz .LBB3_309
.LBB3_310:
	s_or_b32 exec_lo, exec_lo, s9
	v_mov_b32_e32 v5, 0
	s_mov_b32 s14, exec_lo
	s_mov_b32 s9, exec_lo
	v_mbcnt_lo_u32_b32 v4, s14, 0
	global_load_b64 v[2:3], v5, s[12:13] offset:16
	s_wait_xcnt 0x0
	v_cmpx_eq_u32_e32 0, v4
	s_cbranch_execz .LBB3_312
; %bb.311:
	s_bcnt1_i32_b32 s14, s14
	s_delay_alu instid0(SALU_CYCLE_1)
	v_mov_b32_e32 v4, s14
	global_wb scope:SCOPE_SYS
	s_wait_loadcnt 0x0
	s_wait_storecnt 0x0
	global_atomic_add_u64 v[2:3], v[4:5], off offset:8 scope:SCOPE_SYS
.LBB3_312:
	s_wait_xcnt 0x0
	s_or_b32 exec_lo, exec_lo, s9
	s_wait_loadcnt 0x0
	global_load_b64 v[4:5], v[2:3], off offset:16
	s_wait_loadcnt 0x0
	v_cmp_eq_u64_e32 vcc_lo, 0, v[4:5]
	s_cbranch_vccnz .LBB3_314
; %bb.313:
	global_load_b32 v2, v[2:3], off offset:24
	s_wait_xcnt 0x0
	v_mov_b32_e32 v3, 0
	s_wait_loadcnt 0x0
	v_readfirstlane_b32 s9, v2
	global_wb scope:SCOPE_SYS
	s_wait_storecnt 0x0
	global_store_b64 v[4:5], v[2:3], off scope:SCOPE_SYS
	s_and_b32 m0, s9, 0xffffff
	s_sendmsg sendmsg(MSG_INTERRUPT)
.LBB3_314:
	s_wait_xcnt 0x0
	s_or_b32 exec_lo, exec_lo, s3
	v_add_nc_u64_e32 v[2:3], v[8:9], v[0:1]
	s_branch .LBB3_318
.LBB3_315:                              ;   in Loop: Header=BB3_318 Depth=1
	s_wait_xcnt 0x0
	s_or_b32 exec_lo, exec_lo, s3
	s_delay_alu instid0(VALU_DEP_1)
	v_readfirstlane_b32 s3, v1
	s_cmp_eq_u32 s3, 0
	s_cbranch_scc1 .LBB3_317
; %bb.316:                              ;   in Loop: Header=BB3_318 Depth=1
	s_sleep 1
	s_cbranch_execnz .LBB3_318
	s_branch .LBB3_320
.LBB3_317:
	s_branch .LBB3_320
.LBB3_318:                              ; =>This Inner Loop Header: Depth=1
	v_mov_b32_e32 v1, 1
	s_and_saveexec_b32 s3, s2
	s_cbranch_execz .LBB3_315
; %bb.319:                              ;   in Loop: Header=BB3_318 Depth=1
	global_load_b32 v1, v[10:11], off offset:20 scope:SCOPE_SYS
	s_wait_loadcnt 0x0
	global_inv scope:SCOPE_SYS
	v_and_b32_e32 v1, 1, v1
	s_branch .LBB3_315
.LBB3_320:
	global_load_b64 v[4:5], v[2:3], off
	s_wait_xcnt 0x0
	s_and_saveexec_b32 s9, s2
	s_cbranch_execz .LBB3_324
; %bb.321:
	v_mov_b32_e32 v1, 0
	s_clause 0x2
	global_load_b64 v[2:3], v1, s[12:13] offset:40
	global_load_b64 v[10:11], v1, s[12:13] offset:24 scope:SCOPE_SYS
	global_load_b64 v[6:7], v1, s[12:13]
	s_wait_loadcnt 0x2
	v_readfirstlane_b32 s18, v2
	v_readfirstlane_b32 s19, v3
	s_add_nc_u64 s[2:3], s[18:19], 1
	s_delay_alu instid0(SALU_CYCLE_1) | instskip(NEXT) | instid1(SALU_CYCLE_1)
	s_add_nc_u64 s[16:17], s[2:3], s[16:17]
	s_cmp_eq_u64 s[16:17], 0
	s_cselect_b32 s3, s3, s17
	s_cselect_b32 s2, s2, s16
	v_mov_b32_e32 v9, s3
	s_and_b64 s[16:17], s[2:3], s[18:19]
	v_mov_b32_e32 v8, s2
	s_mul_u64 s[16:17], s[16:17], 24
	s_wait_loadcnt 0x0
	v_add_nc_u64_e32 v[2:3], s[16:17], v[6:7]
	global_store_b64 v[2:3], v[10:11], off
	global_wb scope:SCOPE_SYS
	s_wait_storecnt 0x0
	s_wait_xcnt 0x0
	global_atomic_cmpswap_b64 v[8:9], v1, v[8:11], s[12:13] offset:24 th:TH_ATOMIC_RETURN scope:SCOPE_SYS
	s_wait_loadcnt 0x0
	v_cmp_ne_u64_e32 vcc_lo, v[8:9], v[10:11]
	s_and_b32 exec_lo, exec_lo, vcc_lo
	s_cbranch_execz .LBB3_324
; %bb.322:
	s_mov_b32 s14, 0
.LBB3_323:                              ; =>This Inner Loop Header: Depth=1
	v_dual_mov_b32 v6, s2 :: v_dual_mov_b32 v7, s3
	s_sleep 1
	global_store_b64 v[2:3], v[8:9], off
	global_wb scope:SCOPE_SYS
	s_wait_storecnt 0x0
	s_wait_xcnt 0x0
	global_atomic_cmpswap_b64 v[6:7], v1, v[6:9], s[12:13] offset:24 th:TH_ATOMIC_RETURN scope:SCOPE_SYS
	s_wait_loadcnt 0x0
	v_cmp_eq_u64_e32 vcc_lo, v[6:7], v[8:9]
	v_mov_b64_e32 v[8:9], v[6:7]
	s_or_b32 s14, vcc_lo, s14
	s_delay_alu instid0(SALU_CYCLE_1)
	s_and_not1_b32 exec_lo, exec_lo, s14
	s_cbranch_execnz .LBB3_323
.LBB3_324:
	s_or_b32 exec_lo, exec_lo, s9
.LBB3_325:
	v_readfirstlane_b32 s2, v29
	s_wait_loadcnt 0x0
	v_mov_b64_e32 v[2:3], 0
	s_delay_alu instid0(VALU_DEP_2)
	v_cmp_eq_u32_e64 s2, s2, v29
	s_and_saveexec_b32 s3, s2
	s_cbranch_execz .LBB3_331
; %bb.326:
	v_mov_b32_e32 v1, 0
	s_mov_b32 s9, exec_lo
	global_load_b64 v[8:9], v1, s[12:13] offset:24 scope:SCOPE_SYS
	s_wait_loadcnt 0x0
	global_inv scope:SCOPE_SYS
	s_clause 0x1
	global_load_b64 v[2:3], v1, s[12:13] offset:40
	global_load_b64 v[6:7], v1, s[12:13]
	s_wait_loadcnt 0x1
	v_and_b32_e32 v2, v2, v8
	v_and_b32_e32 v3, v3, v9
	s_delay_alu instid0(VALU_DEP_1) | instskip(SKIP_1) | instid1(VALU_DEP_1)
	v_mul_u64_e32 v[2:3], 24, v[2:3]
	s_wait_loadcnt 0x0
	v_add_nc_u64_e32 v[2:3], v[6:7], v[2:3]
	global_load_b64 v[6:7], v[2:3], off scope:SCOPE_SYS
	s_wait_xcnt 0x0
	s_wait_loadcnt 0x0
	global_atomic_cmpswap_b64 v[2:3], v1, v[6:9], s[12:13] offset:24 th:TH_ATOMIC_RETURN scope:SCOPE_SYS
	s_wait_loadcnt 0x0
	global_inv scope:SCOPE_SYS
	s_wait_xcnt 0x0
	v_cmpx_ne_u64_e64 v[2:3], v[8:9]
	s_cbranch_execz .LBB3_330
; %bb.327:
	s_mov_b32 s14, 0
.LBB3_328:                              ; =>This Inner Loop Header: Depth=1
	s_sleep 1
	s_clause 0x1
	global_load_b64 v[6:7], v1, s[12:13] offset:40
	global_load_b64 v[10:11], v1, s[12:13]
	v_mov_b64_e32 v[8:9], v[2:3]
	s_wait_loadcnt 0x1
	s_delay_alu instid0(VALU_DEP_1) | instskip(NEXT) | instid1(VALU_DEP_2)
	v_and_b32_e32 v2, v6, v8
	v_and_b32_e32 v6, v7, v9
	s_wait_loadcnt 0x0
	s_delay_alu instid0(VALU_DEP_2) | instskip(NEXT) | instid1(VALU_DEP_1)
	v_mad_nc_u64_u32 v[2:3], v2, 24, v[10:11]
	v_mad_u32 v3, v6, 24, v3
	global_load_b64 v[6:7], v[2:3], off scope:SCOPE_SYS
	s_wait_xcnt 0x0
	s_wait_loadcnt 0x0
	global_atomic_cmpswap_b64 v[2:3], v1, v[6:9], s[12:13] offset:24 th:TH_ATOMIC_RETURN scope:SCOPE_SYS
	s_wait_loadcnt 0x0
	global_inv scope:SCOPE_SYS
	v_cmp_eq_u64_e32 vcc_lo, v[2:3], v[8:9]
	s_or_b32 s14, vcc_lo, s14
	s_wait_xcnt 0x0
	s_and_not1_b32 exec_lo, exec_lo, s14
	s_cbranch_execnz .LBB3_328
; %bb.329:
	s_or_b32 exec_lo, exec_lo, s14
.LBB3_330:
	s_delay_alu instid0(SALU_CYCLE_1)
	s_or_b32 exec_lo, exec_lo, s9
.LBB3_331:
	s_delay_alu instid0(SALU_CYCLE_1)
	s_or_b32 exec_lo, exec_lo, s3
	v_readfirstlane_b32 s16, v2
	v_mov_b32_e32 v1, 0
	v_readfirstlane_b32 s17, v3
	s_mov_b32 s3, exec_lo
	s_clause 0x1
	global_load_b64 v[6:7], v1, s[12:13] offset:40
	global_load_b128 v[8:11], v1, s[12:13]
	s_wait_loadcnt 0x1
	v_and_b32_e32 v2, s16, v6
	v_and_b32_e32 v3, s17, v7
	s_delay_alu instid0(VALU_DEP_1) | instskip(SKIP_1) | instid1(VALU_DEP_1)
	v_mul_u64_e32 v[6:7], 24, v[2:3]
	s_wait_loadcnt 0x0
	v_add_nc_u64_e32 v[12:13], v[8:9], v[6:7]
	s_wait_xcnt 0x0
	s_and_saveexec_b32 s9, s2
	s_cbranch_execz .LBB3_333
; %bb.332:
	v_mov_b64_e32 v[16:17], 0x100000002
	v_dual_mov_b32 v14, s3 :: v_dual_mov_b32 v15, v1
	global_store_b128 v[12:13], v[14:17], off offset:8
.LBB3_333:
	s_wait_xcnt 0x0
	s_or_b32 exec_lo, exec_lo, s9
	v_lshlrev_b64_e32 v[2:3], 12, v[2:3]
	s_mul_i32 s3, s15, s26
	s_add_co_i32 s9, s15, 1
	s_sub_co_i32 s3, s8, s3
	s_mov_b32 s20, 0
	s_sub_co_i32 s14, s3, s26
	s_cmp_ge_u32 s3, s26
	v_add_nc_u64_e32 v[10:11], v[10:11], v[2:3]
	s_cselect_b32 s9, s9, s15
	s_cselect_b32 s3, s14, s3
	s_add_co_i32 s14, s9, 1
	s_cmp_ge_u32 s3, s26
	s_mov_b32 s21, s20
	s_mov_b32 s22, s20
	;; [unrolled: 1-line block ×3, first 2 shown]
	s_cselect_b32 s3, s14, s9
	v_mov_b64_e32 v[14:15], s[20:21]
	v_mov_b64_e32 v[16:17], s[22:23]
	v_and_or_b32 v4, 0xffffff1f, v4, 32
	v_dual_mov_b32 v6, s3 :: v_dual_mov_b32 v7, v1
	v_readfirstlane_b32 s14, v10
	v_readfirstlane_b32 s15, v11
	s_clause 0x3
	global_store_b128 v0, v[4:7], s[14:15]
	global_store_b128 v0, v[14:17], s[14:15] offset:16
	global_store_b128 v0, v[14:17], s[14:15] offset:32
	;; [unrolled: 1-line block ×3, first 2 shown]
	s_wait_xcnt 0x0
	s_and_saveexec_b32 s3, s2
	s_cbranch_execz .LBB3_341
; %bb.334:
	v_dual_mov_b32 v14, 0 :: v_dual_mov_b32 v17, s17
	s_mov_b32 s9, exec_lo
	s_clause 0x1
	global_load_b64 v[18:19], v14, s[12:13] offset:32 scope:SCOPE_SYS
	global_load_b64 v[2:3], v14, s[12:13] offset:40
	s_wait_loadcnt 0x0
	v_dual_mov_b32 v16, s16 :: v_dual_bitop2_b32 v3, s17, v3 bitop3:0x40
	v_and_b32_e32 v2, s16, v2
	s_delay_alu instid0(VALU_DEP_1) | instskip(NEXT) | instid1(VALU_DEP_1)
	v_mul_u64_e32 v[2:3], 24, v[2:3]
	v_add_nc_u64_e32 v[6:7], v[8:9], v[2:3]
	global_store_b64 v[6:7], v[18:19], off
	global_wb scope:SCOPE_SYS
	s_wait_storecnt 0x0
	s_wait_xcnt 0x0
	global_atomic_cmpswap_b64 v[4:5], v14, v[16:19], s[12:13] offset:32 th:TH_ATOMIC_RETURN scope:SCOPE_SYS
	s_wait_loadcnt 0x0
	v_cmpx_ne_u64_e64 v[4:5], v[18:19]
	s_cbranch_execz .LBB3_337
; %bb.335:
	s_mov_b32 s14, 0
.LBB3_336:                              ; =>This Inner Loop Header: Depth=1
	v_dual_mov_b32 v2, s16 :: v_dual_mov_b32 v3, s17
	s_sleep 1
	global_store_b64 v[6:7], v[4:5], off
	global_wb scope:SCOPE_SYS
	s_wait_storecnt 0x0
	s_wait_xcnt 0x0
	global_atomic_cmpswap_b64 v[2:3], v14, v[2:5], s[12:13] offset:32 th:TH_ATOMIC_RETURN scope:SCOPE_SYS
	s_wait_loadcnt 0x0
	v_cmp_eq_u64_e32 vcc_lo, v[2:3], v[4:5]
	v_mov_b64_e32 v[4:5], v[2:3]
	s_or_b32 s14, vcc_lo, s14
	s_delay_alu instid0(SALU_CYCLE_1)
	s_and_not1_b32 exec_lo, exec_lo, s14
	s_cbranch_execnz .LBB3_336
.LBB3_337:
	s_or_b32 exec_lo, exec_lo, s9
	v_mov_b32_e32 v5, 0
	s_mov_b32 s14, exec_lo
	s_mov_b32 s9, exec_lo
	v_mbcnt_lo_u32_b32 v4, s14, 0
	global_load_b64 v[2:3], v5, s[12:13] offset:16
	s_wait_xcnt 0x0
	v_cmpx_eq_u32_e32 0, v4
	s_cbranch_execz .LBB3_339
; %bb.338:
	s_bcnt1_i32_b32 s14, s14
	s_delay_alu instid0(SALU_CYCLE_1)
	v_mov_b32_e32 v4, s14
	global_wb scope:SCOPE_SYS
	s_wait_loadcnt 0x0
	s_wait_storecnt 0x0
	global_atomic_add_u64 v[2:3], v[4:5], off offset:8 scope:SCOPE_SYS
.LBB3_339:
	s_wait_xcnt 0x0
	s_or_b32 exec_lo, exec_lo, s9
	s_wait_loadcnt 0x0
	global_load_b64 v[4:5], v[2:3], off offset:16
	s_wait_loadcnt 0x0
	v_cmp_eq_u64_e32 vcc_lo, 0, v[4:5]
	s_cbranch_vccnz .LBB3_341
; %bb.340:
	global_load_b32 v2, v[2:3], off offset:24
	s_wait_xcnt 0x0
	v_mov_b32_e32 v3, 0
	s_wait_loadcnt 0x0
	v_readfirstlane_b32 s9, v2
	global_wb scope:SCOPE_SYS
	s_wait_storecnt 0x0
	global_store_b64 v[4:5], v[2:3], off scope:SCOPE_SYS
	s_and_b32 m0, s9, 0xffffff
	s_sendmsg sendmsg(MSG_INTERRUPT)
.LBB3_341:
	s_wait_xcnt 0x0
	s_or_b32 exec_lo, exec_lo, s3
	v_add_nc_u64_e32 v[2:3], v[10:11], v[0:1]
	s_branch .LBB3_345
.LBB3_342:                              ;   in Loop: Header=BB3_345 Depth=1
	s_wait_xcnt 0x0
	s_or_b32 exec_lo, exec_lo, s3
	s_delay_alu instid0(VALU_DEP_1)
	v_readfirstlane_b32 s3, v1
	s_cmp_eq_u32 s3, 0
	s_cbranch_scc1 .LBB3_344
; %bb.343:                              ;   in Loop: Header=BB3_345 Depth=1
	s_sleep 1
	s_cbranch_execnz .LBB3_345
	s_branch .LBB3_347
.LBB3_344:
	s_branch .LBB3_347
.LBB3_345:                              ; =>This Inner Loop Header: Depth=1
	v_mov_b32_e32 v1, 1
	s_and_saveexec_b32 s3, s2
	s_cbranch_execz .LBB3_342
; %bb.346:                              ;   in Loop: Header=BB3_345 Depth=1
	global_load_b32 v1, v[12:13], off offset:20 scope:SCOPE_SYS
	s_wait_loadcnt 0x0
	global_inv scope:SCOPE_SYS
	v_and_b32_e32 v1, 1, v1
	s_branch .LBB3_342
.LBB3_347:
	global_load_b64 v[2:3], v[2:3], off
	s_wait_xcnt 0x0
	s_and_saveexec_b32 s9, s2
	s_cbranch_execz .LBB3_351
; %bb.348:
	v_mov_b32_e32 v1, 0
	s_clause 0x2
	global_load_b64 v[4:5], v1, s[12:13] offset:40
	global_load_b64 v[12:13], v1, s[12:13] offset:24 scope:SCOPE_SYS
	global_load_b64 v[6:7], v1, s[12:13]
	s_wait_loadcnt 0x2
	v_readfirstlane_b32 s14, v4
	v_readfirstlane_b32 s15, v5
	s_add_nc_u64 s[2:3], s[14:15], 1
	s_delay_alu instid0(SALU_CYCLE_1) | instskip(NEXT) | instid1(SALU_CYCLE_1)
	s_add_nc_u64 s[16:17], s[2:3], s[16:17]
	s_cmp_eq_u64 s[16:17], 0
	s_cselect_b32 s3, s3, s17
	s_cselect_b32 s2, s2, s16
	v_mov_b32_e32 v11, s3
	s_and_b64 s[14:15], s[2:3], s[14:15]
	v_mov_b32_e32 v10, s2
	s_mul_u64 s[14:15], s[14:15], 24
	s_wait_loadcnt 0x0
	v_add_nc_u64_e32 v[8:9], s[14:15], v[6:7]
	global_store_b64 v[8:9], v[12:13], off
	global_wb scope:SCOPE_SYS
	s_wait_storecnt 0x0
	s_wait_xcnt 0x0
	global_atomic_cmpswap_b64 v[6:7], v1, v[10:13], s[12:13] offset:24 th:TH_ATOMIC_RETURN scope:SCOPE_SYS
	s_wait_loadcnt 0x0
	v_cmp_ne_u64_e32 vcc_lo, v[6:7], v[12:13]
	s_and_b32 exec_lo, exec_lo, vcc_lo
	s_cbranch_execz .LBB3_351
; %bb.349:
	s_mov_b32 s14, 0
.LBB3_350:                              ; =>This Inner Loop Header: Depth=1
	v_dual_mov_b32 v4, s2 :: v_dual_mov_b32 v5, s3
	s_sleep 1
	global_store_b64 v[8:9], v[6:7], off
	global_wb scope:SCOPE_SYS
	s_wait_storecnt 0x0
	s_wait_xcnt 0x0
	global_atomic_cmpswap_b64 v[4:5], v1, v[4:7], s[12:13] offset:24 th:TH_ATOMIC_RETURN scope:SCOPE_SYS
	s_wait_loadcnt 0x0
	v_cmp_eq_u64_e32 vcc_lo, v[4:5], v[6:7]
	v_mov_b64_e32 v[6:7], v[4:5]
	s_or_b32 s14, vcc_lo, s14
	s_delay_alu instid0(SALU_CYCLE_1)
	s_and_not1_b32 exec_lo, exec_lo, s14
	s_cbranch_execnz .LBB3_350
.LBB3_351:
	s_or_b32 exec_lo, exec_lo, s9
	v_readfirstlane_b32 s2, v29
	v_mov_b64_e32 v[10:11], 0
	s_delay_alu instid0(VALU_DEP_2)
	v_cmp_eq_u32_e64 s2, s2, v29
	s_and_saveexec_b32 s3, s2
	s_cbranch_execz .LBB3_357
; %bb.352:
	v_mov_b32_e32 v1, 0
	s_mov_b32 s9, exec_lo
	global_load_b64 v[6:7], v1, s[12:13] offset:24 scope:SCOPE_SYS
	s_wait_loadcnt 0x0
	global_inv scope:SCOPE_SYS
	s_clause 0x1
	global_load_b64 v[4:5], v1, s[12:13] offset:40
	global_load_b64 v[8:9], v1, s[12:13]
	s_wait_loadcnt 0x1
	v_and_b32_e32 v4, v4, v6
	v_and_b32_e32 v5, v5, v7
	s_delay_alu instid0(VALU_DEP_1) | instskip(SKIP_1) | instid1(VALU_DEP_1)
	v_mul_u64_e32 v[4:5], 24, v[4:5]
	s_wait_loadcnt 0x0
	v_add_nc_u64_e32 v[4:5], v[8:9], v[4:5]
	global_load_b64 v[4:5], v[4:5], off scope:SCOPE_SYS
	s_wait_xcnt 0x0
	s_wait_loadcnt 0x0
	global_atomic_cmpswap_b64 v[10:11], v1, v[4:7], s[12:13] offset:24 th:TH_ATOMIC_RETURN scope:SCOPE_SYS
	s_wait_loadcnt 0x0
	global_inv scope:SCOPE_SYS
	s_wait_xcnt 0x0
	v_cmpx_ne_u64_e64 v[10:11], v[6:7]
	s_cbranch_execz .LBB3_356
; %bb.353:
	s_mov_b32 s14, 0
.LBB3_354:                              ; =>This Inner Loop Header: Depth=1
	s_sleep 1
	s_clause 0x1
	global_load_b64 v[4:5], v1, s[12:13] offset:40
	global_load_b64 v[8:9], v1, s[12:13]
	v_mov_b64_e32 v[6:7], v[10:11]
	s_wait_loadcnt 0x1
	s_delay_alu instid0(VALU_DEP_1) | instskip(SKIP_1) | instid1(VALU_DEP_1)
	v_and_b32_e32 v4, v4, v6
	s_wait_loadcnt 0x0
	v_mad_nc_u64_u32 v[8:9], v4, 24, v[8:9]
	s_delay_alu instid0(VALU_DEP_3) | instskip(NEXT) | instid1(VALU_DEP_1)
	v_and_b32_e32 v4, v5, v7
	v_mad_u32 v9, v4, 24, v9
	global_load_b64 v[4:5], v[8:9], off scope:SCOPE_SYS
	s_wait_xcnt 0x0
	s_wait_loadcnt 0x0
	global_atomic_cmpswap_b64 v[10:11], v1, v[4:7], s[12:13] offset:24 th:TH_ATOMIC_RETURN scope:SCOPE_SYS
	s_wait_loadcnt 0x0
	global_inv scope:SCOPE_SYS
	v_cmp_eq_u64_e32 vcc_lo, v[10:11], v[6:7]
	s_or_b32 s14, vcc_lo, s14
	s_wait_xcnt 0x0
	s_and_not1_b32 exec_lo, exec_lo, s14
	s_cbranch_execnz .LBB3_354
; %bb.355:
	s_or_b32 exec_lo, exec_lo, s14
.LBB3_356:
	s_delay_alu instid0(SALU_CYCLE_1)
	s_or_b32 exec_lo, exec_lo, s9
.LBB3_357:
	s_delay_alu instid0(SALU_CYCLE_1)
	s_or_b32 exec_lo, exec_lo, s3
	v_readfirstlane_b32 s14, v10
	v_mov_b32_e32 v5, 0
	v_readfirstlane_b32 s15, v11
	s_mov_b32 s3, exec_lo
	s_clause 0x1
	global_load_b64 v[12:13], v5, s[12:13] offset:40
	global_load_b128 v[6:9], v5, s[12:13]
	s_wait_loadcnt 0x1
	v_and_b32_e32 v12, s14, v12
	v_and_b32_e32 v13, s15, v13
	s_delay_alu instid0(VALU_DEP_1) | instskip(SKIP_1) | instid1(VALU_DEP_1)
	v_mul_u64_e32 v[10:11], 24, v[12:13]
	s_wait_loadcnt 0x0
	v_add_nc_u64_e32 v[10:11], v[6:7], v[10:11]
	s_wait_xcnt 0x0
	s_and_saveexec_b32 s9, s2
	s_cbranch_execz .LBB3_359
; %bb.358:
	v_mov_b32_e32 v4, s3
	v_mov_b64_e32 v[16:17], 0x100000002
	s_delay_alu instid0(VALU_DEP_2)
	v_mov_b64_e32 v[14:15], v[4:5]
	global_store_b128 v[10:11], v[14:17], off offset:8
.LBB3_359:
	s_wait_xcnt 0x0
	s_or_b32 exec_lo, exec_lo, s9
	v_lshlrev_b64_e32 v[12:13], 12, v[12:13]
	s_mov_b32 s16, 0
	v_and_or_b32 v2, 0xffffff1d, v2, 34
	s_mov_b32 s17, s16
	s_mov_b32 s18, s16
	;; [unrolled: 1-line block ×3, first 2 shown]
	v_mov_b32_e32 v4, s26
	v_add_nc_u64_e32 v[8:9], v[8:9], v[12:13]
	v_mov_b64_e32 v[12:13], s[16:17]
	v_mov_b64_e32 v[14:15], s[18:19]
	s_delay_alu instid0(VALU_DEP_3) | instskip(NEXT) | instid1(VALU_DEP_4)
	v_readfirstlane_b32 s20, v8
	v_readfirstlane_b32 s21, v9
	s_clause 0x3
	global_store_b128 v0, v[2:5], s[20:21]
	global_store_b128 v0, v[12:15], s[20:21] offset:16
	global_store_b128 v0, v[12:15], s[20:21] offset:32
	;; [unrolled: 1-line block ×3, first 2 shown]
	s_wait_xcnt 0x0
	s_and_saveexec_b32 s3, s2
	s_cbranch_execz .LBB3_366
; %bb.360:
	v_dual_mov_b32 v8, 0 :: v_dual_mov_b32 v13, s15
	s_mov_b32 s9, exec_lo
	s_clause 0x1
	global_load_b64 v[14:15], v8, s[12:13] offset:32 scope:SCOPE_SYS
	global_load_b64 v[0:1], v8, s[12:13] offset:40
	s_wait_loadcnt 0x0
	v_dual_mov_b32 v12, s14 :: v_dual_bitop2_b32 v1, s15, v1 bitop3:0x40
	v_and_b32_e32 v0, s14, v0
	s_delay_alu instid0(VALU_DEP_1) | instskip(NEXT) | instid1(VALU_DEP_1)
	v_mul_u64_e32 v[0:1], 24, v[0:1]
	v_add_nc_u64_e32 v[4:5], v[6:7], v[0:1]
	global_store_b64 v[4:5], v[14:15], off
	global_wb scope:SCOPE_SYS
	s_wait_storecnt 0x0
	s_wait_xcnt 0x0
	global_atomic_cmpswap_b64 v[2:3], v8, v[12:15], s[12:13] offset:32 th:TH_ATOMIC_RETURN scope:SCOPE_SYS
	s_wait_loadcnt 0x0
	v_cmpx_ne_u64_e64 v[2:3], v[14:15]
	s_cbranch_execz .LBB3_362
.LBB3_361:                              ; =>This Inner Loop Header: Depth=1
	v_dual_mov_b32 v0, s14 :: v_dual_mov_b32 v1, s15
	s_sleep 1
	global_store_b64 v[4:5], v[2:3], off
	global_wb scope:SCOPE_SYS
	s_wait_storecnt 0x0
	s_wait_xcnt 0x0
	global_atomic_cmpswap_b64 v[0:1], v8, v[0:3], s[12:13] offset:32 th:TH_ATOMIC_RETURN scope:SCOPE_SYS
	s_wait_loadcnt 0x0
	v_cmp_eq_u64_e32 vcc_lo, v[0:1], v[2:3]
	v_mov_b64_e32 v[2:3], v[0:1]
	s_or_b32 s16, vcc_lo, s16
	s_delay_alu instid0(SALU_CYCLE_1)
	s_and_not1_b32 exec_lo, exec_lo, s16
	s_cbranch_execnz .LBB3_361
.LBB3_362:
	s_or_b32 exec_lo, exec_lo, s9
	v_mov_b32_e32 v3, 0
	s_mov_b32 s16, exec_lo
	s_mov_b32 s9, exec_lo
	v_mbcnt_lo_u32_b32 v2, s16, 0
	global_load_b64 v[0:1], v3, s[12:13] offset:16
	s_wait_xcnt 0x0
	v_cmpx_eq_u32_e32 0, v2
	s_cbranch_execz .LBB3_364
; %bb.363:
	s_bcnt1_i32_b32 s16, s16
	s_delay_alu instid0(SALU_CYCLE_1)
	v_mov_b32_e32 v2, s16
	global_wb scope:SCOPE_SYS
	s_wait_loadcnt 0x0
	s_wait_storecnt 0x0
	global_atomic_add_u64 v[0:1], v[2:3], off offset:8 scope:SCOPE_SYS
.LBB3_364:
	s_wait_xcnt 0x0
	s_or_b32 exec_lo, exec_lo, s9
	s_wait_loadcnt 0x0
	global_load_b64 v[2:3], v[0:1], off offset:16
	s_wait_loadcnt 0x0
	v_cmp_eq_u64_e32 vcc_lo, 0, v[2:3]
	s_cbranch_vccnz .LBB3_366
; %bb.365:
	global_load_b32 v0, v[0:1], off offset:24
	s_wait_xcnt 0x0
	v_mov_b32_e32 v1, 0
	s_wait_loadcnt 0x0
	v_readfirstlane_b32 s9, v0
	global_wb scope:SCOPE_SYS
	s_wait_storecnt 0x0
	global_store_b64 v[2:3], v[0:1], off scope:SCOPE_SYS
	s_and_b32 m0, s9, 0xffffff
	s_sendmsg sendmsg(MSG_INTERRUPT)
.LBB3_366:
	s_wait_xcnt 0x0
	s_or_b32 exec_lo, exec_lo, s3
	s_branch .LBB3_370
.LBB3_367:                              ;   in Loop: Header=BB3_370 Depth=1
	s_wait_xcnt 0x0
	s_or_b32 exec_lo, exec_lo, s3
	s_delay_alu instid0(VALU_DEP_1)
	v_readfirstlane_b32 s3, v0
	s_cmp_eq_u32 s3, 0
	s_cbranch_scc1 .LBB3_369
; %bb.368:                              ;   in Loop: Header=BB3_370 Depth=1
	s_sleep 1
	s_cbranch_execnz .LBB3_370
	s_branch .LBB3_372
.LBB3_369:
	s_branch .LBB3_372
.LBB3_370:                              ; =>This Inner Loop Header: Depth=1
	v_mov_b32_e32 v0, 1
	s_and_saveexec_b32 s3, s2
	s_cbranch_execz .LBB3_367
; %bb.371:                              ;   in Loop: Header=BB3_370 Depth=1
	global_load_b32 v0, v[10:11], off offset:20 scope:SCOPE_SYS
	s_wait_loadcnt 0x0
	global_inv scope:SCOPE_SYS
	v_and_b32_e32 v0, 1, v0
	s_branch .LBB3_367
.LBB3_372:
	s_and_b32 exec_lo, exec_lo, s2
	s_cbranch_execz .LBB3_376
; %bb.373:
	v_mov_b32_e32 v6, 0
	s_clause 0x2
	global_load_b64 v[0:1], v6, s[12:13] offset:40
	global_load_b64 v[10:11], v6, s[12:13] offset:24 scope:SCOPE_SYS
	global_load_b64 v[2:3], v6, s[12:13]
	s_wait_loadcnt 0x2
	v_readfirstlane_b32 s16, v0
	v_readfirstlane_b32 s17, v1
	s_add_nc_u64 s[2:3], s[16:17], 1
	s_delay_alu instid0(SALU_CYCLE_1) | instskip(NEXT) | instid1(SALU_CYCLE_1)
	s_add_nc_u64 s[14:15], s[2:3], s[14:15]
	s_cmp_eq_u64 s[14:15], 0
	s_cselect_b32 s3, s3, s15
	s_cselect_b32 s2, s2, s14
	v_mov_b32_e32 v9, s3
	s_and_b64 s[14:15], s[2:3], s[16:17]
	v_mov_b32_e32 v8, s2
	s_mul_u64 s[14:15], s[14:15], 24
	s_wait_loadcnt 0x0
	v_add_nc_u64_e32 v[4:5], s[14:15], v[2:3]
	global_store_b64 v[4:5], v[10:11], off
	global_wb scope:SCOPE_SYS
	s_wait_storecnt 0x0
	s_wait_xcnt 0x0
	global_atomic_cmpswap_b64 v[2:3], v6, v[8:11], s[12:13] offset:24 th:TH_ATOMIC_RETURN scope:SCOPE_SYS
	s_wait_loadcnt 0x0
	v_cmp_ne_u64_e32 vcc_lo, v[2:3], v[10:11]
	s_and_b32 exec_lo, exec_lo, vcc_lo
	s_cbranch_execz .LBB3_376
; %bb.374:
	s_mov_b32 s9, 0
.LBB3_375:                              ; =>This Inner Loop Header: Depth=1
	v_dual_mov_b32 v0, s2 :: v_dual_mov_b32 v1, s3
	s_sleep 1
	global_store_b64 v[4:5], v[2:3], off
	global_wb scope:SCOPE_SYS
	s_wait_storecnt 0x0
	s_wait_xcnt 0x0
	global_atomic_cmpswap_b64 v[0:1], v6, v[0:3], s[12:13] offset:24 th:TH_ATOMIC_RETURN scope:SCOPE_SYS
	s_wait_loadcnt 0x0
	v_cmp_eq_u64_e32 vcc_lo, v[0:1], v[2:3]
	v_mov_b64_e32 v[2:3], v[0:1]
	s_or_b32 s9, vcc_lo, s9
	s_delay_alu instid0(SALU_CYCLE_1)
	s_and_not1_b32 exec_lo, exec_lo, s9
	s_cbranch_execnz .LBB3_375
.LBB3_376:
	s_or_b32 exec_lo, exec_lo, s27
	s_wait_kmcnt 0x0
	s_bcnt1_i32_b32 s2, s26
	global_wb scope:SCOPE_DEV
	s_wait_loadcnt 0x0
	s_wait_storecnt 0x0
	global_inv scope:SCOPE_DEV
	s_cmp_lg_u32 s2, 1
	s_cbranch_scc1 .LBB3_379
; %bb.377:
	s_ctz_i32_b32 s3, s26
	s_bitcmp1_b32 s10, 0
	v_lshrrev_b32_e32 v2, s3, v36
	s_cselect_b32 s2, -1, 0
	s_delay_alu instid0(VALU_DEP_1) | instskip(NEXT) | instid1(VALU_DEP_1)
	v_mul_lo_u32 v0, v2, s26
	v_cmp_gt_i32_e32 vcc_lo, 1, v0
	v_subrev_co_ci_u32_e64 v3, null, 0, v0, s2
	s_and_b32 s2, s2, vcc_lo
	s_bitcmp0_b64 s[10:11], 1
	v_cndmask_b32_e64 v0, 0, 1, s2
	s_cbranch_scc1 .LBB3_380
; %bb.378:
	v_cmp_gt_i32_e32 vcc_lo, 1, v3
	s_delay_alu instid0(VALU_DEP_2) | instskip(SKIP_2) | instid1(SALU_CYCLE_1)
	v_cmp_gt_u32_e64 s2, s26, v0
	v_add_nc_u32_e32 v3, -1, v3
	s_and_b32 vcc_lo, vcc_lo, s2
	v_cndmask_b32_e64 v1, 0, 2, vcc_lo
	v_add_co_ci_u32_e64 v4, null, 0, v0, vcc_lo
	s_delay_alu instid0(VALU_DEP_2) | instskip(NEXT) | instid1(VALU_DEP_1)
	v_or_b32_e32 v6, v1, v0
	v_mov_b64_e32 v[0:1], v[6:7]
	s_bitcmp0_b64 s[10:11], 2
	s_cbranch_scc0 .LBB3_381
	s_branch .LBB3_382
.LBB3_379:
	v_mov_b64_e32 v[2:3], 0
	v_dual_mov_b32 v0, 0 :: v_dual_mov_b32 v39, 0
	s_mov_b64 s[8:9], 1
	s_branch .LBB3_412
.LBB3_380:
	s_delay_alu instid0(VALU_DEP_1)
	v_mov_b32_e32 v4, v0
	s_bitcmp0_b64 s[10:11], 2
	s_cbranch_scc1 .LBB3_382
.LBB3_381:
	v_cmp_gt_i32_e32 vcc_lo, 1, v3
	s_delay_alu instid0(VALU_DEP_2) | instskip(SKIP_2) | instid1(SALU_CYCLE_1)
	v_cmp_gt_u32_e64 s2, s26, v4
	v_add_nc_u32_e32 v3, -1, v3
	s_and_b32 vcc_lo, vcc_lo, s2
	v_cndmask_b32_e64 v1, 0, 4, vcc_lo
	v_add_co_ci_u32_e64 v4, null, 0, v4, vcc_lo
	s_delay_alu instid0(VALU_DEP_2)
	v_or_b32_e32 v0, v1, v0
.LBB3_382:
	s_bitcmp0_b64 s[10:11], 3
	s_cbranch_scc0 .LBB3_527
; %bb.383:
	s_bitcmp0_b64 s[10:11], 4
	s_cbranch_scc0 .LBB3_528
.LBB3_384:
	s_bitcmp0_b64 s[10:11], 5
	s_cbranch_scc0 .LBB3_529
.LBB3_385:
	s_bitcmp0_b64 s[10:11], 6
	s_cbranch_scc0 .LBB3_530
.LBB3_386:
	s_bitcmp0_b64 s[10:11], 7
	s_cbranch_scc0 .LBB3_531
.LBB3_387:
	s_bitcmp0_b64 s[10:11], 8
	s_cbranch_scc0 .LBB3_532
.LBB3_388:
	s_bitcmp0_b64 s[10:11], 9
	s_cbranch_scc0 .LBB3_533
.LBB3_389:
	s_bitcmp0_b64 s[10:11], 10
	s_cbranch_scc0 .LBB3_534
.LBB3_390:
	s_bitcmp0_b64 s[10:11], 11
	s_cbranch_scc0 .LBB3_535
.LBB3_391:
	s_bitcmp0_b64 s[10:11], 12
	s_cbranch_scc0 .LBB3_536
.LBB3_392:
	s_bitcmp0_b64 s[10:11], 13
	s_cbranch_scc0 .LBB3_537
.LBB3_393:
	s_bitcmp0_b64 s[10:11], 14
	s_cbranch_scc0 .LBB3_538
.LBB3_394:
	s_bitcmp0_b64 s[10:11], 15
	s_cbranch_scc0 .LBB3_539
.LBB3_395:
	s_bitcmp0_b64 s[10:11], 16
	s_cbranch_scc0 .LBB3_540
.LBB3_396:
	s_bitcmp0_b64 s[10:11], 17
	s_cbranch_scc0 .LBB3_541
.LBB3_397:
	s_bitcmp0_b64 s[10:11], 18
	s_cbranch_scc0 .LBB3_542
.LBB3_398:
	s_bitcmp0_b64 s[10:11], 19
	s_cbranch_scc0 .LBB3_543
.LBB3_399:
	s_bitcmp0_b64 s[10:11], 20
	s_cbranch_scc0 .LBB3_544
.LBB3_400:
	s_bitcmp0_b64 s[10:11], 21
	s_cbranch_scc0 .LBB3_545
.LBB3_401:
	s_bitcmp0_b64 s[10:11], 22
	s_cbranch_scc0 .LBB3_546
.LBB3_402:
	s_bitcmp0_b64 s[10:11], 23
	s_cbranch_scc0 .LBB3_547
.LBB3_403:
	s_bitcmp0_b64 s[10:11], 24
	s_cbranch_scc0 .LBB3_548
.LBB3_404:
	s_bitcmp0_b64 s[10:11], 25
	s_cbranch_scc0 .LBB3_549
.LBB3_405:
	s_bitcmp0_b64 s[10:11], 26
	s_cbranch_scc0 .LBB3_550
.LBB3_406:
	s_bitcmp0_b64 s[10:11], 27
	s_cbranch_scc0 .LBB3_551
.LBB3_407:
	s_bitcmp0_b64 s[10:11], 28
	s_cbranch_scc0 .LBB3_552
.LBB3_408:
	s_bitcmp0_b64 s[10:11], 29
	s_cbranch_scc0 .LBB3_553
.LBB3_409:
	s_bitcmp0_b64 s[10:11], 30
	s_cbranch_scc1 .LBB3_411
.LBB3_410:
	v_cmp_gt_i32_e32 vcc_lo, 1, v3
	v_cmp_gt_u32_e64 s2, s26, v4
	v_add_nc_u32_e32 v3, -1, v3
	s_and_b32 vcc_lo, vcc_lo, s2
	s_delay_alu instid0(SALU_CYCLE_1) | instskip(SKIP_1) | instid1(VALU_DEP_2)
	v_cndmask_b32_e64 v1, 0, 2.0, vcc_lo
	v_add_co_ci_u32_e64 v4, null, 0, v4, vcc_lo
	v_or_b32_e32 v0, v1, v0
.LBB3_411:
	v_cmp_gt_i32_e32 vcc_lo, 1, v3
	s_cmp_lt_i32 s10, 0
	s_delay_alu instid0(VALU_DEP_3) | instskip(SKIP_3) | instid1(SALU_CYCLE_1)
	v_cmp_gt_u32_e64 s2, s26, v4
	s_cselect_b32 s9, -1, 0
	v_mov_b32_e32 v3, 0
	s_and_b32 s9, vcc_lo, s9
	s_and_b32 s2, s9, s2
	s_mov_b32 s9, 0
	v_cndmask_b32_e64 v1, 0, 0x80000000, s2
	s_add_co_i32 s2, s26, s8
	s_delay_alu instid0(SALU_CYCLE_1) | instskip(NEXT) | instid1(VALU_DEP_1)
	s_add_co_i32 s2, s2, -1
	v_or_b32_e32 v0, v1, v0
	s_lshr_b32 s8, s2, s3
	s_delay_alu instid0(VALU_DEP_1)
	v_bcnt_u32_b32 v39, v0, 0
.LBB3_412:
	s_delay_alu instid0(VALU_DEP_1)
	v_mbcnt_lo_u32_b32 v6, v0, 0
	v_mov_b32_e32 v38, v36
	s_mov_b32 s3, 0
	s_mov_b32 s2, exec_lo
	v_cmpx_lt_u32_e32 1, v39
	s_cbranch_execz .LBB3_418
; %bb.413:
	v_dual_sub_nc_u32 v4, v36, v6 :: v_dual_lshlrev_b32 v0, 2, v6
	v_dual_mov_b32 v7, v39 :: v_dual_mov_b32 v38, v36
	s_delay_alu instid0(VALU_DEP_2) | instskip(NEXT) | instid1(VALU_DEP_1)
	v_dual_mov_b32 v1, 0 :: v_dual_ashrrev_i32 v5, 31, v4
	v_lshl_add_u64 v[4:5], v[4:5], 2, s[6:7]
	s_delay_alu instid0(VALU_DEP_1)
	v_add_nc_u64_e32 v[4:5], v[4:5], v[0:1]
	s_branch .LBB3_415
.LBB3_414:                              ;   in Loop: Header=BB3_415 Depth=1
	s_or_b32 exec_lo, exec_lo, s6
	v_cmp_gt_u32_e32 vcc_lo, 4, v7
	v_mov_b32_e32 v7, v0
	global_wb scope:SCOPE_DEV
	s_wait_loadcnt 0x0
	s_wait_storecnt 0x0
	global_inv scope:SCOPE_DEV
	s_or_b32 s3, vcc_lo, s3
	s_delay_alu instid0(SALU_CYCLE_1)
	s_and_not1_b32 exec_lo, exec_lo, s3
	s_cbranch_execz .LBB3_417
.LBB3_415:                              ; =>This Inner Loop Header: Depth=1
	v_lshrrev_b32_e32 v0, 1, v7
	s_mov_b32 s6, exec_lo
	flat_store_b32 v[4:5], v38
	global_wb scope:SCOPE_DEV
	s_wait_storecnt 0x0
	s_wait_loadcnt_dscnt 0x0
	global_inv scope:SCOPE_DEV
	v_cmpx_lt_i32_e64 v6, v0
	s_cbranch_execz .LBB3_414
; %bb.416:                              ;   in Loop: Header=BB3_415 Depth=1
	v_lshl_add_u64 v[8:9], v[0:1], 2, v[4:5]
	flat_load_b32 v8, v[8:9]
	s_wait_loadcnt_dscnt 0x0
	v_add_nc_u32_e32 v38, v8, v38
	s_branch .LBB3_414
.LBB3_417:
	s_or_b32 exec_lo, exec_lo, s3
.LBB3_418:
	s_delay_alu instid0(SALU_CYCLE_1)
	s_or_b32 exec_lo, exec_lo, s2
	v_cmp_eq_u32_e64 s2, 0, v6
	s_and_b32 exec_lo, exec_lo, s2
	s_cbranch_execz .LBB3_685
; %bb.419:
	s_load_b64 s[4:5], s[4:5], 0x50
	v_mbcnt_lo_u32_b32 v37, -1, 0
	v_mov_b64_e32 v[0:1], 0
	s_delay_alu instid0(VALU_DEP_2) | instskip(NEXT) | instid1(VALU_DEP_1)
	v_readfirstlane_b32 s3, v37
	v_cmp_eq_u32_e64 s3, s3, v37
	s_and_saveexec_b32 s6, s3
	s_cbranch_execz .LBB3_425
; %bb.420:
	v_mov_b32_e32 v4, 0
	s_mov_b32 s7, exec_lo
	s_wait_kmcnt 0x0
	global_load_b64 v[8:9], v4, s[4:5] offset:24 scope:SCOPE_SYS
	s_wait_loadcnt 0x0
	global_inv scope:SCOPE_SYS
	s_clause 0x1
	global_load_b64 v[0:1], v4, s[4:5] offset:40
	global_load_b64 v[6:7], v4, s[4:5]
	s_wait_loadcnt 0x1
	v_and_b32_e32 v0, v0, v8
	v_and_b32_e32 v1, v1, v9
	s_delay_alu instid0(VALU_DEP_1) | instskip(SKIP_1) | instid1(VALU_DEP_1)
	v_mul_u64_e32 v[0:1], 24, v[0:1]
	s_wait_loadcnt 0x0
	v_add_nc_u64_e32 v[0:1], v[6:7], v[0:1]
	global_load_b64 v[6:7], v[0:1], off scope:SCOPE_SYS
	s_wait_xcnt 0x0
	s_wait_loadcnt 0x0
	global_atomic_cmpswap_b64 v[0:1], v4, v[6:9], s[4:5] offset:24 th:TH_ATOMIC_RETURN scope:SCOPE_SYS
	s_wait_loadcnt 0x0
	global_inv scope:SCOPE_SYS
	s_wait_xcnt 0x0
	v_cmpx_ne_u64_e64 v[0:1], v[8:9]
	s_cbranch_execz .LBB3_424
; %bb.421:
	s_mov_b32 s10, 0
.LBB3_422:                              ; =>This Inner Loop Header: Depth=1
	s_sleep 1
	s_clause 0x1
	global_load_b64 v[6:7], v4, s[4:5] offset:40
	global_load_b64 v[10:11], v4, s[4:5]
	v_mov_b64_e32 v[8:9], v[0:1]
	s_wait_loadcnt 0x1
	s_delay_alu instid0(VALU_DEP_1) | instskip(NEXT) | instid1(VALU_DEP_2)
	v_and_b32_e32 v0, v6, v8
	v_and_b32_e32 v5, v7, v9
	s_wait_loadcnt 0x0
	s_delay_alu instid0(VALU_DEP_2) | instskip(NEXT) | instid1(VALU_DEP_1)
	v_mad_nc_u64_u32 v[0:1], v0, 24, v[10:11]
	v_mad_u32 v1, v5, 24, v1
	global_load_b64 v[6:7], v[0:1], off scope:SCOPE_SYS
	s_wait_xcnt 0x0
	s_wait_loadcnt 0x0
	global_atomic_cmpswap_b64 v[0:1], v4, v[6:9], s[4:5] offset:24 th:TH_ATOMIC_RETURN scope:SCOPE_SYS
	s_wait_loadcnt 0x0
	global_inv scope:SCOPE_SYS
	v_cmp_eq_u64_e32 vcc_lo, v[0:1], v[8:9]
	s_or_b32 s10, vcc_lo, s10
	s_wait_xcnt 0x0
	s_and_not1_b32 exec_lo, exec_lo, s10
	s_cbranch_execnz .LBB3_422
; %bb.423:
	s_or_b32 exec_lo, exec_lo, s10
.LBB3_424:
	s_delay_alu instid0(SALU_CYCLE_1)
	s_or_b32 exec_lo, exec_lo, s7
.LBB3_425:
	s_delay_alu instid0(SALU_CYCLE_1)
	s_or_b32 exec_lo, exec_lo, s6
	v_readfirstlane_b32 s6, v0
	v_mov_b32_e32 v5, 0
	v_readfirstlane_b32 s7, v1
	s_mov_b32 s10, exec_lo
	s_wait_kmcnt 0x0
	s_clause 0x1
	global_load_b64 v[6:7], v5, s[4:5] offset:40
	global_load_b128 v[8:11], v5, s[4:5]
	s_wait_loadcnt 0x1
	v_and_b32_e32 v12, s6, v6
	v_and_b32_e32 v13, s7, v7
	s_delay_alu instid0(VALU_DEP_1) | instskip(SKIP_1) | instid1(VALU_DEP_1)
	v_mul_u64_e32 v[0:1], 24, v[12:13]
	s_wait_loadcnt 0x0
	v_add_nc_u64_e32 v[0:1], v[8:9], v[0:1]
	s_and_saveexec_b32 s11, s3
	s_cbranch_execz .LBB3_427
; %bb.426:
	v_mov_b64_e32 v[6:7], 0x100000002
	v_mov_b32_e32 v4, s10
	global_store_b128 v[0:1], v[4:7], off offset:8
.LBB3_427:
	s_wait_xcnt 0x0
	s_or_b32 exec_lo, exec_lo, s11
	v_lshlrev_b64_e32 v[6:7], 12, v[12:13]
	s_mov_b32 s12, 0
	v_dual_lshlrev_b32 v4, 6, v37 :: v_dual_mov_b32 v12, 33
	s_mov_b32 s14, s12
	s_mov_b32 s15, s12
	;; [unrolled: 1-line block ×3, first 2 shown]
	s_delay_alu instid0(VALU_DEP_2)
	v_add_nc_u64_e32 v[10:11], v[10:11], v[6:7]
	v_mov_b64_e32 v[18:19], s[14:15]
	v_mov_b64_e32 v[16:17], s[12:13]
	v_dual_mov_b32 v13, v5 :: v_dual_mov_b32 v14, v5
	v_mov_b32_e32 v15, v5
	v_readfirstlane_b32 s10, v10
	v_readfirstlane_b32 s11, v11
	s_clause 0x3
	global_store_b128 v4, v[12:15], s[10:11]
	global_store_b128 v4, v[16:19], s[10:11] offset:16
	global_store_b128 v4, v[16:19], s[10:11] offset:32
	;; [unrolled: 1-line block ×3, first 2 shown]
	s_wait_xcnt 0x0
	s_and_saveexec_b32 s10, s3
	s_cbranch_execz .LBB3_434
; %bb.428:
	v_dual_mov_b32 v14, 0 :: v_dual_mov_b32 v17, s7
	s_mov_b32 s11, exec_lo
	s_clause 0x1
	global_load_b64 v[18:19], v14, s[4:5] offset:32 scope:SCOPE_SYS
	global_load_b64 v[6:7], v14, s[4:5] offset:40
	s_wait_loadcnt 0x0
	v_dual_mov_b32 v16, s6 :: v_dual_bitop2_b32 v7, s7, v7 bitop3:0x40
	v_and_b32_e32 v6, s6, v6
	s_delay_alu instid0(VALU_DEP_1) | instskip(NEXT) | instid1(VALU_DEP_1)
	v_mul_u64_e32 v[6:7], 24, v[6:7]
	v_add_nc_u64_e32 v[12:13], v[8:9], v[6:7]
	global_store_b64 v[12:13], v[18:19], off
	global_wb scope:SCOPE_SYS
	s_wait_storecnt 0x0
	s_wait_xcnt 0x0
	global_atomic_cmpswap_b64 v[8:9], v14, v[16:19], s[4:5] offset:32 th:TH_ATOMIC_RETURN scope:SCOPE_SYS
	s_wait_loadcnt 0x0
	v_cmpx_ne_u64_e64 v[8:9], v[18:19]
	s_cbranch_execz .LBB3_430
.LBB3_429:                              ; =>This Inner Loop Header: Depth=1
	v_dual_mov_b32 v6, s6 :: v_dual_mov_b32 v7, s7
	s_sleep 1
	global_store_b64 v[12:13], v[8:9], off
	global_wb scope:SCOPE_SYS
	s_wait_storecnt 0x0
	s_wait_xcnt 0x0
	global_atomic_cmpswap_b64 v[6:7], v14, v[6:9], s[4:5] offset:32 th:TH_ATOMIC_RETURN scope:SCOPE_SYS
	s_wait_loadcnt 0x0
	v_cmp_eq_u64_e32 vcc_lo, v[6:7], v[8:9]
	v_mov_b64_e32 v[8:9], v[6:7]
	s_or_b32 s12, vcc_lo, s12
	s_delay_alu instid0(SALU_CYCLE_1)
	s_and_not1_b32 exec_lo, exec_lo, s12
	s_cbranch_execnz .LBB3_429
.LBB3_430:
	s_or_b32 exec_lo, exec_lo, s11
	v_mov_b32_e32 v9, 0
	s_mov_b32 s12, exec_lo
	s_mov_b32 s11, exec_lo
	v_mbcnt_lo_u32_b32 v8, s12, 0
	global_load_b64 v[6:7], v9, s[4:5] offset:16
	s_wait_xcnt 0x0
	v_cmpx_eq_u32_e32 0, v8
	s_cbranch_execz .LBB3_432
; %bb.431:
	s_bcnt1_i32_b32 s12, s12
	s_delay_alu instid0(SALU_CYCLE_1)
	v_mov_b32_e32 v8, s12
	global_wb scope:SCOPE_SYS
	s_wait_loadcnt 0x0
	s_wait_storecnt 0x0
	global_atomic_add_u64 v[6:7], v[8:9], off offset:8 scope:SCOPE_SYS
.LBB3_432:
	s_wait_xcnt 0x0
	s_or_b32 exec_lo, exec_lo, s11
	s_wait_loadcnt 0x0
	global_load_b64 v[8:9], v[6:7], off offset:16
	s_wait_loadcnt 0x0
	v_cmp_eq_u64_e32 vcc_lo, 0, v[8:9]
	s_cbranch_vccnz .LBB3_434
; %bb.433:
	global_load_b32 v6, v[6:7], off offset:24
	s_wait_xcnt 0x0
	v_mov_b32_e32 v7, 0
	s_wait_loadcnt 0x0
	v_readfirstlane_b32 s11, v6
	global_wb scope:SCOPE_SYS
	s_wait_storecnt 0x0
	global_store_b64 v[8:9], v[6:7], off scope:SCOPE_SYS
	s_and_b32 m0, s11, 0xffffff
	s_sendmsg sendmsg(MSG_INTERRUPT)
.LBB3_434:
	s_wait_xcnt 0x0
	s_or_b32 exec_lo, exec_lo, s10
	v_add_nc_u64_e32 v[6:7], v[10:11], v[4:5]
	s_branch .LBB3_438
.LBB3_435:                              ;   in Loop: Header=BB3_438 Depth=1
	s_wait_xcnt 0x0
	s_or_b32 exec_lo, exec_lo, s10
	s_delay_alu instid0(VALU_DEP_1)
	v_readfirstlane_b32 s10, v5
	s_cmp_eq_u32 s10, 0
	s_cbranch_scc1 .LBB3_437
; %bb.436:                              ;   in Loop: Header=BB3_438 Depth=1
	s_sleep 1
	s_cbranch_execnz .LBB3_438
	s_branch .LBB3_440
.LBB3_437:
	s_branch .LBB3_440
.LBB3_438:                              ; =>This Inner Loop Header: Depth=1
	v_mov_b32_e32 v5, 1
	s_and_saveexec_b32 s10, s3
	s_cbranch_execz .LBB3_435
; %bb.439:                              ;   in Loop: Header=BB3_438 Depth=1
	global_load_b32 v5, v[0:1], off offset:20 scope:SCOPE_SYS
	s_wait_loadcnt 0x0
	global_inv scope:SCOPE_SYS
	v_and_b32_e32 v5, 1, v5
	s_branch .LBB3_435
.LBB3_440:
	global_load_b64 v[6:7], v[6:7], off
	s_wait_xcnt 0x0
	s_and_saveexec_b32 s10, s3
	s_cbranch_execz .LBB3_444
; %bb.441:
	v_mov_b32_e32 v5, 0
	s_clause 0x2
	global_load_b64 v[0:1], v5, s[4:5] offset:40
	global_load_b64 v[12:13], v5, s[4:5] offset:24 scope:SCOPE_SYS
	global_load_b64 v[8:9], v5, s[4:5]
	s_wait_loadcnt 0x2
	v_readfirstlane_b32 s12, v0
	v_readfirstlane_b32 s13, v1
	s_add_nc_u64 s[14:15], s[12:13], 1
	s_delay_alu instid0(SALU_CYCLE_1) | instskip(NEXT) | instid1(SALU_CYCLE_1)
	s_add_nc_u64 s[6:7], s[14:15], s[6:7]
	s_cmp_eq_u64 s[6:7], 0
	s_cselect_b32 s7, s15, s7
	s_cselect_b32 s6, s14, s6
	v_mov_b32_e32 v11, s7
	s_and_b64 s[12:13], s[6:7], s[12:13]
	v_mov_b32_e32 v10, s6
	s_mul_u64 s[12:13], s[12:13], 24
	s_wait_loadcnt 0x0
	v_add_nc_u64_e32 v[0:1], s[12:13], v[8:9]
	global_store_b64 v[0:1], v[12:13], off
	global_wb scope:SCOPE_SYS
	s_wait_storecnt 0x0
	s_wait_xcnt 0x0
	global_atomic_cmpswap_b64 v[10:11], v5, v[10:13], s[4:5] offset:24 th:TH_ATOMIC_RETURN scope:SCOPE_SYS
	s_wait_loadcnt 0x0
	v_cmp_ne_u64_e32 vcc_lo, v[10:11], v[12:13]
	s_and_b32 exec_lo, exec_lo, vcc_lo
	s_cbranch_execz .LBB3_444
; %bb.442:
	s_mov_b32 s3, 0
.LBB3_443:                              ; =>This Inner Loop Header: Depth=1
	v_dual_mov_b32 v8, s6 :: v_dual_mov_b32 v9, s7
	s_sleep 1
	global_store_b64 v[0:1], v[10:11], off
	global_wb scope:SCOPE_SYS
	s_wait_storecnt 0x0
	s_wait_xcnt 0x0
	global_atomic_cmpswap_b64 v[8:9], v5, v[8:11], s[4:5] offset:24 th:TH_ATOMIC_RETURN scope:SCOPE_SYS
	s_wait_loadcnt 0x0
	v_cmp_eq_u64_e32 vcc_lo, v[8:9], v[10:11]
	v_mov_b64_e32 v[10:11], v[8:9]
	s_or_b32 s3, vcc_lo, s3
	s_delay_alu instid0(SALU_CYCLE_1)
	s_and_not1_b32 exec_lo, exec_lo, s3
	s_cbranch_execnz .LBB3_443
.LBB3_444:
	s_or_b32 exec_lo, exec_lo, s10
	s_get_pc_i64 s[6:7]
	s_add_nc_u64 s[6:7], s[6:7], .str.2@rel64+4
	s_mov_b64 s[10:11], 0
	s_cmp_lg_u64 s[6:7], 0
	s_cselect_b32 s3, -1, 0
	s_cmp_eq_u64 s[6:7], 0
	s_cbranch_scc1 .LBB3_448
; %bb.445:
	s_get_pc_i64 s[10:11]
	s_add_nc_u64 s[10:11], s[10:11], .str.2@rel64+3
.LBB3_446:                              ; =>This Inner Loop Header: Depth=1
	s_load_u8 s12, s[10:11], 0x1
	s_wait_xcnt 0x0
	s_add_nc_u64 s[10:11], s[10:11], 1
	s_wait_kmcnt 0x0
	s_cmp_lg_u32 s12, 0
	s_cbranch_scc1 .LBB3_446
; %bb.447:
	s_get_pc_i64 s[12:13]
	s_add_nc_u64 s[12:13], s[12:13], .str.2@rel64+4
	s_delay_alu instid0(SALU_CYCLE_1) | instskip(NEXT) | instid1(SALU_CYCLE_1)
	s_sub_nc_u64 s[10:11], s[10:11], s[12:13]
	s_add_nc_u64 s[10:11], s[10:11], 1
.LBB3_448:
	s_and_b32 vcc_lo, exec_lo, s3
	s_cbranch_vccz .LBB3_554
; %bb.449:
	v_mov_b64_e32 v[14:15], 0x100000002
	s_wait_loadcnt 0x0
	v_dual_mov_b32 v13, 0 :: v_dual_bitop2_b32 v0, 2, v6 bitop3:0x40
	v_dual_mov_b32 v9, v7 :: v_dual_bitop2_b32 v8, -3, v6 bitop3:0x40
	s_branch .LBB3_451
.LBB3_450:                              ;   in Loop: Header=BB3_451 Depth=1
	s_or_b32 exec_lo, exec_lo, s16
	s_sub_nc_u64 s[10:11], s[10:11], s[12:13]
	s_add_nc_u64 s[6:7], s[6:7], s[12:13]
	s_cmp_lg_u64 s[10:11], 0
	s_cbranch_scc0 .LBB3_526
.LBB3_451:                              ; =>This Loop Header: Depth=1
                                        ;     Child Loop BB3_454 Depth 2
                                        ;     Child Loop BB3_461 Depth 2
	;; [unrolled: 1-line block ×11, first 2 shown]
	v_min_u64 v[10:11], s[10:11], 56
	v_cmp_gt_u64_e64 s3, s[10:11], 7
	s_and_b32 vcc_lo, exec_lo, s3
	v_readfirstlane_b32 s12, v10
	v_readfirstlane_b32 s13, v11
	s_cbranch_vccnz .LBB3_456
; %bb.452:                              ;   in Loop: Header=BB3_451 Depth=1
	v_mov_b64_e32 v[10:11], 0
	s_cmp_eq_u64 s[10:11], 0
	s_cbranch_scc1 .LBB3_455
; %bb.453:                              ;   in Loop: Header=BB3_451 Depth=1
	s_mov_b64 s[14:15], 0
	s_mov_b64 s[16:17], 0
.LBB3_454:                              ;   Parent Loop BB3_451 Depth=1
                                        ; =>  This Inner Loop Header: Depth=2
	s_wait_xcnt 0x0
	s_add_nc_u64 s[18:19], s[6:7], s[16:17]
	s_add_nc_u64 s[16:17], s[16:17], 1
	global_load_u8 v1, v13, s[18:19]
	s_cmp_lg_u32 s12, s16
	s_wait_loadcnt 0x0
	v_and_b32_e32 v12, 0xffff, v1
	s_delay_alu instid0(VALU_DEP_1) | instskip(SKIP_1) | instid1(VALU_DEP_1)
	v_lshlrev_b64_e32 v[16:17], s14, v[12:13]
	s_add_nc_u64 s[14:15], s[14:15], 8
	v_or_b32_e32 v10, v16, v10
	s_delay_alu instid0(VALU_DEP_2)
	v_or_b32_e32 v11, v17, v11
	s_cbranch_scc1 .LBB3_454
.LBB3_455:                              ;   in Loop: Header=BB3_451 Depth=1
	s_mov_b64 s[16:17], s[6:7]
	s_mov_b32 s3, 0
	s_cbranch_execz .LBB3_457
	s_branch .LBB3_458
.LBB3_456:                              ;   in Loop: Header=BB3_451 Depth=1
	s_add_nc_u64 s[16:17], s[6:7], 8
                                        ; kill: def $vgpr10_vgpr11 killed $sgpr0_sgpr1 killed $exec
	s_mov_b32 s3, 0
.LBB3_457:                              ;   in Loop: Header=BB3_451 Depth=1
	global_load_b64 v[10:11], v13, s[6:7]
	s_add_co_i32 s3, s12, -8
.LBB3_458:                              ;   in Loop: Header=BB3_451 Depth=1
	s_delay_alu instid0(SALU_CYCLE_1)
	s_cmp_gt_u32 s3, 7
	s_cbranch_scc1 .LBB3_463
; %bb.459:                              ;   in Loop: Header=BB3_451 Depth=1
	v_mov_b64_e32 v[16:17], 0
	s_cmp_eq_u32 s3, 0
	s_cbranch_scc1 .LBB3_462
; %bb.460:                              ;   in Loop: Header=BB3_451 Depth=1
	s_mov_b64 s[14:15], 0
	s_wait_xcnt 0x0
	s_mov_b64 s[18:19], 0
.LBB3_461:                              ;   Parent Loop BB3_451 Depth=1
                                        ; =>  This Inner Loop Header: Depth=2
	s_wait_xcnt 0x0
	s_add_nc_u64 s[20:21], s[16:17], s[18:19]
	s_add_nc_u64 s[18:19], s[18:19], 1
	global_load_u8 v1, v13, s[20:21]
	s_cmp_lg_u32 s3, s18
	s_wait_loadcnt 0x0
	v_and_b32_e32 v12, 0xffff, v1
	s_delay_alu instid0(VALU_DEP_1) | instskip(SKIP_1) | instid1(VALU_DEP_1)
	v_lshlrev_b64_e32 v[18:19], s14, v[12:13]
	s_add_nc_u64 s[14:15], s[14:15], 8
	v_or_b32_e32 v16, v18, v16
	s_delay_alu instid0(VALU_DEP_2)
	v_or_b32_e32 v17, v19, v17
	s_cbranch_scc1 .LBB3_461
.LBB3_462:                              ;   in Loop: Header=BB3_451 Depth=1
	s_wait_xcnt 0x0
	s_mov_b64 s[14:15], s[16:17]
	s_mov_b32 s20, 0
	s_cbranch_execz .LBB3_464
	s_branch .LBB3_465
.LBB3_463:                              ;   in Loop: Header=BB3_451 Depth=1
	s_add_nc_u64 s[14:15], s[16:17], 8
	s_wait_xcnt 0x0
                                        ; implicit-def: $vgpr16_vgpr17
	s_mov_b32 s20, 0
.LBB3_464:                              ;   in Loop: Header=BB3_451 Depth=1
	global_load_b64 v[16:17], v13, s[16:17]
	s_add_co_i32 s20, s3, -8
.LBB3_465:                              ;   in Loop: Header=BB3_451 Depth=1
	s_delay_alu instid0(SALU_CYCLE_1)
	s_cmp_gt_u32 s20, 7
	s_cbranch_scc1 .LBB3_470
; %bb.466:                              ;   in Loop: Header=BB3_451 Depth=1
	v_mov_b64_e32 v[18:19], 0
	s_cmp_eq_u32 s20, 0
	s_cbranch_scc1 .LBB3_469
; %bb.467:                              ;   in Loop: Header=BB3_451 Depth=1
	s_wait_xcnt 0x0
	s_mov_b64 s[16:17], 0
	s_mov_b64 s[18:19], 0
.LBB3_468:                              ;   Parent Loop BB3_451 Depth=1
                                        ; =>  This Inner Loop Header: Depth=2
	s_wait_xcnt 0x0
	s_add_nc_u64 s[22:23], s[14:15], s[18:19]
	s_add_nc_u64 s[18:19], s[18:19], 1
	global_load_u8 v1, v13, s[22:23]
	s_cmp_lg_u32 s20, s18
	s_wait_loadcnt 0x0
	v_and_b32_e32 v12, 0xffff, v1
	s_delay_alu instid0(VALU_DEP_1) | instskip(SKIP_1) | instid1(VALU_DEP_1)
	v_lshlrev_b64_e32 v[20:21], s16, v[12:13]
	s_add_nc_u64 s[16:17], s[16:17], 8
	v_or_b32_e32 v18, v20, v18
	s_delay_alu instid0(VALU_DEP_2)
	v_or_b32_e32 v19, v21, v19
	s_cbranch_scc1 .LBB3_468
.LBB3_469:                              ;   in Loop: Header=BB3_451 Depth=1
	s_wait_xcnt 0x0
	s_mov_b64 s[16:17], s[14:15]
	s_mov_b32 s3, 0
	s_cbranch_execz .LBB3_471
	s_branch .LBB3_472
.LBB3_470:                              ;   in Loop: Header=BB3_451 Depth=1
	s_wait_xcnt 0x0
	s_add_nc_u64 s[16:17], s[14:15], 8
                                        ; kill: def $vgpr18_vgpr19 killed $sgpr0_sgpr1 killed $exec
	s_mov_b32 s3, 0
.LBB3_471:                              ;   in Loop: Header=BB3_451 Depth=1
	global_load_b64 v[18:19], v13, s[14:15]
	s_add_co_i32 s3, s20, -8
.LBB3_472:                              ;   in Loop: Header=BB3_451 Depth=1
	s_delay_alu instid0(SALU_CYCLE_1)
	s_cmp_gt_u32 s3, 7
	s_cbranch_scc1 .LBB3_477
; %bb.473:                              ;   in Loop: Header=BB3_451 Depth=1
	v_mov_b64_e32 v[20:21], 0
	s_cmp_eq_u32 s3, 0
	s_cbranch_scc1 .LBB3_476
; %bb.474:                              ;   in Loop: Header=BB3_451 Depth=1
	s_wait_xcnt 0x0
	s_mov_b64 s[14:15], 0
	s_mov_b64 s[18:19], 0
.LBB3_475:                              ;   Parent Loop BB3_451 Depth=1
                                        ; =>  This Inner Loop Header: Depth=2
	s_wait_xcnt 0x0
	s_add_nc_u64 s[20:21], s[16:17], s[18:19]
	s_add_nc_u64 s[18:19], s[18:19], 1
	global_load_u8 v1, v13, s[20:21]
	s_cmp_lg_u32 s3, s18
	s_wait_loadcnt 0x0
	v_and_b32_e32 v12, 0xffff, v1
	s_delay_alu instid0(VALU_DEP_1) | instskip(SKIP_1) | instid1(VALU_DEP_1)
	v_lshlrev_b64_e32 v[22:23], s14, v[12:13]
	s_add_nc_u64 s[14:15], s[14:15], 8
	v_or_b32_e32 v20, v22, v20
	s_delay_alu instid0(VALU_DEP_2)
	v_or_b32_e32 v21, v23, v21
	s_cbranch_scc1 .LBB3_475
.LBB3_476:                              ;   in Loop: Header=BB3_451 Depth=1
	s_wait_xcnt 0x0
	s_mov_b64 s[14:15], s[16:17]
	s_mov_b32 s20, 0
	s_cbranch_execz .LBB3_478
	s_branch .LBB3_479
.LBB3_477:                              ;   in Loop: Header=BB3_451 Depth=1
	s_wait_xcnt 0x0
	s_add_nc_u64 s[14:15], s[16:17], 8
                                        ; implicit-def: $vgpr20_vgpr21
	s_mov_b32 s20, 0
.LBB3_478:                              ;   in Loop: Header=BB3_451 Depth=1
	global_load_b64 v[20:21], v13, s[16:17]
	s_add_co_i32 s20, s3, -8
.LBB3_479:                              ;   in Loop: Header=BB3_451 Depth=1
	s_delay_alu instid0(SALU_CYCLE_1)
	s_cmp_gt_u32 s20, 7
	s_cbranch_scc1 .LBB3_484
; %bb.480:                              ;   in Loop: Header=BB3_451 Depth=1
	v_mov_b64_e32 v[22:23], 0
	s_cmp_eq_u32 s20, 0
	s_cbranch_scc1 .LBB3_483
; %bb.481:                              ;   in Loop: Header=BB3_451 Depth=1
	s_wait_xcnt 0x0
	s_mov_b64 s[16:17], 0
	s_mov_b64 s[18:19], 0
.LBB3_482:                              ;   Parent Loop BB3_451 Depth=1
                                        ; =>  This Inner Loop Header: Depth=2
	s_wait_xcnt 0x0
	s_add_nc_u64 s[22:23], s[14:15], s[18:19]
	s_add_nc_u64 s[18:19], s[18:19], 1
	global_load_u8 v1, v13, s[22:23]
	s_cmp_lg_u32 s20, s18
	s_wait_loadcnt 0x0
	v_and_b32_e32 v12, 0xffff, v1
	s_delay_alu instid0(VALU_DEP_1) | instskip(SKIP_1) | instid1(VALU_DEP_1)
	v_lshlrev_b64_e32 v[24:25], s16, v[12:13]
	s_add_nc_u64 s[16:17], s[16:17], 8
	v_or_b32_e32 v22, v24, v22
	s_delay_alu instid0(VALU_DEP_2)
	v_or_b32_e32 v23, v25, v23
	s_cbranch_scc1 .LBB3_482
.LBB3_483:                              ;   in Loop: Header=BB3_451 Depth=1
	s_wait_xcnt 0x0
	s_mov_b64 s[16:17], s[14:15]
	s_mov_b32 s3, 0
	s_cbranch_execz .LBB3_485
	s_branch .LBB3_486
.LBB3_484:                              ;   in Loop: Header=BB3_451 Depth=1
	s_wait_xcnt 0x0
	s_add_nc_u64 s[16:17], s[14:15], 8
                                        ; kill: def $vgpr22_vgpr23 killed $sgpr0_sgpr1 killed $exec
	s_mov_b32 s3, 0
.LBB3_485:                              ;   in Loop: Header=BB3_451 Depth=1
	global_load_b64 v[22:23], v13, s[14:15]
	s_add_co_i32 s3, s20, -8
.LBB3_486:                              ;   in Loop: Header=BB3_451 Depth=1
	s_delay_alu instid0(SALU_CYCLE_1)
	s_cmp_gt_u32 s3, 7
	s_cbranch_scc1 .LBB3_491
; %bb.487:                              ;   in Loop: Header=BB3_451 Depth=1
	v_mov_b64_e32 v[24:25], 0
	s_cmp_eq_u32 s3, 0
	s_cbranch_scc1 .LBB3_490
; %bb.488:                              ;   in Loop: Header=BB3_451 Depth=1
	s_wait_xcnt 0x0
	s_mov_b64 s[14:15], 0
	s_mov_b64 s[18:19], 0
.LBB3_489:                              ;   Parent Loop BB3_451 Depth=1
                                        ; =>  This Inner Loop Header: Depth=2
	s_wait_xcnt 0x0
	s_add_nc_u64 s[20:21], s[16:17], s[18:19]
	s_add_nc_u64 s[18:19], s[18:19], 1
	global_load_u8 v1, v13, s[20:21]
	s_cmp_lg_u32 s3, s18
	s_wait_loadcnt 0x0
	v_and_b32_e32 v12, 0xffff, v1
	s_delay_alu instid0(VALU_DEP_1) | instskip(SKIP_1) | instid1(VALU_DEP_1)
	v_lshlrev_b64_e32 v[26:27], s14, v[12:13]
	s_add_nc_u64 s[14:15], s[14:15], 8
	v_or_b32_e32 v24, v26, v24
	s_delay_alu instid0(VALU_DEP_2)
	v_or_b32_e32 v25, v27, v25
	s_cbranch_scc1 .LBB3_489
.LBB3_490:                              ;   in Loop: Header=BB3_451 Depth=1
	s_wait_xcnt 0x0
	s_mov_b64 s[14:15], s[16:17]
	s_mov_b32 s20, 0
	s_cbranch_execz .LBB3_492
	s_branch .LBB3_493
.LBB3_491:                              ;   in Loop: Header=BB3_451 Depth=1
	s_wait_xcnt 0x0
	s_add_nc_u64 s[14:15], s[16:17], 8
                                        ; implicit-def: $vgpr24_vgpr25
	s_mov_b32 s20, 0
.LBB3_492:                              ;   in Loop: Header=BB3_451 Depth=1
	global_load_b64 v[24:25], v13, s[16:17]
	s_add_co_i32 s20, s3, -8
.LBB3_493:                              ;   in Loop: Header=BB3_451 Depth=1
	s_delay_alu instid0(SALU_CYCLE_1)
	s_cmp_gt_u32 s20, 7
	s_cbranch_scc1 .LBB3_498
; %bb.494:                              ;   in Loop: Header=BB3_451 Depth=1
	v_mov_b64_e32 v[26:27], 0
	s_cmp_eq_u32 s20, 0
	s_cbranch_scc1 .LBB3_497
; %bb.495:                              ;   in Loop: Header=BB3_451 Depth=1
	s_wait_xcnt 0x0
	s_mov_b64 s[16:17], 0
	s_mov_b64 s[18:19], s[14:15]
.LBB3_496:                              ;   Parent Loop BB3_451 Depth=1
                                        ; =>  This Inner Loop Header: Depth=2
	global_load_u8 v1, v13, s[18:19]
	s_add_co_i32 s20, s20, -1
	s_wait_xcnt 0x0
	s_add_nc_u64 s[18:19], s[18:19], 1
	s_cmp_lg_u32 s20, 0
	s_wait_loadcnt 0x0
	v_and_b32_e32 v12, 0xffff, v1
	s_delay_alu instid0(VALU_DEP_1) | instskip(SKIP_1) | instid1(VALU_DEP_1)
	v_lshlrev_b64_e32 v[28:29], s16, v[12:13]
	s_add_nc_u64 s[16:17], s[16:17], 8
	v_or_b32_e32 v26, v28, v26
	s_delay_alu instid0(VALU_DEP_2)
	v_or_b32_e32 v27, v29, v27
	s_cbranch_scc1 .LBB3_496
.LBB3_497:                              ;   in Loop: Header=BB3_451 Depth=1
	s_cbranch_execz .LBB3_499
	s_branch .LBB3_500
.LBB3_498:                              ;   in Loop: Header=BB3_451 Depth=1
                                        ; kill: def $vgpr26_vgpr27 killed $sgpr0_sgpr1 killed $exec
.LBB3_499:                              ;   in Loop: Header=BB3_451 Depth=1
	global_load_b64 v[26:27], v13, s[14:15]
.LBB3_500:                              ;   in Loop: Header=BB3_451 Depth=1
	v_readfirstlane_b32 s3, v37
	v_mov_b64_e32 v[32:33], 0
	s_delay_alu instid0(VALU_DEP_2)
	v_cmp_eq_u32_e64 s3, s3, v37
	s_wait_xcnt 0x0
	s_and_saveexec_b32 s14, s3
	s_cbranch_execz .LBB3_506
; %bb.501:                              ;   in Loop: Header=BB3_451 Depth=1
	global_load_b64 v[30:31], v13, s[4:5] offset:24 scope:SCOPE_SYS
	s_wait_loadcnt 0x0
	global_inv scope:SCOPE_SYS
	s_clause 0x1
	global_load_b64 v[28:29], v13, s[4:5] offset:40
	global_load_b64 v[32:33], v13, s[4:5]
	s_mov_b32 s15, exec_lo
	s_wait_loadcnt 0x1
	v_and_b32_e32 v28, v28, v30
	v_and_b32_e32 v29, v29, v31
	s_delay_alu instid0(VALU_DEP_1) | instskip(SKIP_1) | instid1(VALU_DEP_1)
	v_mul_u64_e32 v[28:29], 24, v[28:29]
	s_wait_loadcnt 0x0
	v_add_nc_u64_e32 v[28:29], v[32:33], v[28:29]
	global_load_b64 v[28:29], v[28:29], off scope:SCOPE_SYS
	s_wait_xcnt 0x0
	s_wait_loadcnt 0x0
	global_atomic_cmpswap_b64 v[32:33], v13, v[28:31], s[4:5] offset:24 th:TH_ATOMIC_RETURN scope:SCOPE_SYS
	s_wait_loadcnt 0x0
	global_inv scope:SCOPE_SYS
	s_wait_xcnt 0x0
	v_cmpx_ne_u64_e64 v[32:33], v[30:31]
	s_cbranch_execz .LBB3_505
; %bb.502:                              ;   in Loop: Header=BB3_451 Depth=1
	s_mov_b32 s16, 0
.LBB3_503:                              ;   Parent Loop BB3_451 Depth=1
                                        ; =>  This Inner Loop Header: Depth=2
	s_sleep 1
	s_clause 0x1
	global_load_b64 v[28:29], v13, s[4:5] offset:40
	global_load_b64 v[34:35], v13, s[4:5]
	v_mov_b64_e32 v[30:31], v[32:33]
	s_wait_loadcnt 0x1
	s_delay_alu instid0(VALU_DEP_1) | instskip(SKIP_1) | instid1(VALU_DEP_1)
	v_and_b32_e32 v1, v28, v30
	s_wait_loadcnt 0x0
	v_mad_nc_u64_u32 v[32:33], v1, 24, v[34:35]
	s_delay_alu instid0(VALU_DEP_3) | instskip(NEXT) | instid1(VALU_DEP_1)
	v_and_b32_e32 v1, v29, v31
	v_mad_u32 v33, v1, 24, v33
	global_load_b64 v[28:29], v[32:33], off scope:SCOPE_SYS
	s_wait_xcnt 0x0
	s_wait_loadcnt 0x0
	global_atomic_cmpswap_b64 v[32:33], v13, v[28:31], s[4:5] offset:24 th:TH_ATOMIC_RETURN scope:SCOPE_SYS
	s_wait_loadcnt 0x0
	global_inv scope:SCOPE_SYS
	v_cmp_eq_u64_e32 vcc_lo, v[32:33], v[30:31]
	s_or_b32 s16, vcc_lo, s16
	s_wait_xcnt 0x0
	s_and_not1_b32 exec_lo, exec_lo, s16
	s_cbranch_execnz .LBB3_503
; %bb.504:                              ;   in Loop: Header=BB3_451 Depth=1
	s_or_b32 exec_lo, exec_lo, s16
.LBB3_505:                              ;   in Loop: Header=BB3_451 Depth=1
	s_delay_alu instid0(SALU_CYCLE_1)
	s_or_b32 exec_lo, exec_lo, s15
.LBB3_506:                              ;   in Loop: Header=BB3_451 Depth=1
	s_delay_alu instid0(SALU_CYCLE_1)
	s_or_b32 exec_lo, exec_lo, s14
	s_clause 0x1
	global_load_b64 v[34:35], v13, s[4:5] offset:40
	global_load_b128 v[28:31], v13, s[4:5]
	v_readfirstlane_b32 s14, v32
	v_readfirstlane_b32 s15, v33
	s_mov_b32 s16, exec_lo
	s_wait_loadcnt 0x1
	v_and_b32_e32 v34, s14, v34
	v_and_b32_e32 v35, s15, v35
	s_delay_alu instid0(VALU_DEP_1) | instskip(SKIP_1) | instid1(VALU_DEP_1)
	v_mul_u64_e32 v[32:33], 24, v[34:35]
	s_wait_loadcnt 0x0
	v_add_nc_u64_e32 v[32:33], v[28:29], v[32:33]
	s_wait_xcnt 0x0
	s_and_saveexec_b32 s17, s3
	s_cbranch_execz .LBB3_508
; %bb.507:                              ;   in Loop: Header=BB3_451 Depth=1
	v_mov_b32_e32 v12, s16
	global_store_b128 v[32:33], v[12:15], off offset:8
.LBB3_508:                              ;   in Loop: Header=BB3_451 Depth=1
	s_wait_xcnt 0x0
	s_or_b32 exec_lo, exec_lo, s17
	v_cmp_lt_u64_e64 vcc_lo, s[10:11], 57
	v_lshlrev_b64_e32 v[34:35], 12, v[34:35]
	v_and_b32_e32 v5, 0xffffff1f, v8
	s_lshl_b32 s16, s12, 2
	s_delay_alu instid0(SALU_CYCLE_1) | instskip(SKIP_1) | instid1(VALU_DEP_3)
	s_add_co_i32 s16, s16, 28
	v_cndmask_b32_e32 v1, 0, v0, vcc_lo
	v_add_nc_u64_e32 v[30:31], v[30:31], v[34:35]
	s_delay_alu instid0(VALU_DEP_2) | instskip(NEXT) | instid1(VALU_DEP_2)
	v_or_b32_e32 v1, v5, v1
	v_readfirstlane_b32 s17, v31
	s_delay_alu instid0(VALU_DEP_2) | instskip(NEXT) | instid1(VALU_DEP_4)
	v_and_or_b32 v8, 0x1e0, s16, v1
	v_readfirstlane_b32 s16, v30
	s_clause 0x3
	global_store_b128 v4, v[8:11], s[16:17]
	global_store_b128 v4, v[16:19], s[16:17] offset:16
	global_store_b128 v4, v[20:23], s[16:17] offset:32
	;; [unrolled: 1-line block ×3, first 2 shown]
	s_wait_xcnt 0x0
	s_and_saveexec_b32 s16, s3
	s_cbranch_execz .LBB3_516
; %bb.509:                              ;   in Loop: Header=BB3_451 Depth=1
	s_clause 0x1
	global_load_b64 v[20:21], v13, s[4:5] offset:32 scope:SCOPE_SYS
	global_load_b64 v[8:9], v13, s[4:5] offset:40
	s_mov_b32 s17, exec_lo
	v_dual_mov_b32 v18, s14 :: v_dual_mov_b32 v19, s15
	s_wait_loadcnt 0x0
	v_and_b32_e32 v9, s15, v9
	v_and_b32_e32 v8, s14, v8
	s_delay_alu instid0(VALU_DEP_1) | instskip(NEXT) | instid1(VALU_DEP_1)
	v_mul_u64_e32 v[8:9], 24, v[8:9]
	v_add_nc_u64_e32 v[16:17], v[28:29], v[8:9]
	global_store_b64 v[16:17], v[20:21], off
	global_wb scope:SCOPE_SYS
	s_wait_storecnt 0x0
	s_wait_xcnt 0x0
	global_atomic_cmpswap_b64 v[10:11], v13, v[18:21], s[4:5] offset:32 th:TH_ATOMIC_RETURN scope:SCOPE_SYS
	s_wait_loadcnt 0x0
	v_cmpx_ne_u64_e64 v[10:11], v[20:21]
	s_cbranch_execz .LBB3_512
; %bb.510:                              ;   in Loop: Header=BB3_451 Depth=1
	s_mov_b32 s18, 0
.LBB3_511:                              ;   Parent Loop BB3_451 Depth=1
                                        ; =>  This Inner Loop Header: Depth=2
	v_dual_mov_b32 v8, s14 :: v_dual_mov_b32 v9, s15
	s_sleep 1
	global_store_b64 v[16:17], v[10:11], off
	global_wb scope:SCOPE_SYS
	s_wait_storecnt 0x0
	s_wait_xcnt 0x0
	global_atomic_cmpswap_b64 v[8:9], v13, v[8:11], s[4:5] offset:32 th:TH_ATOMIC_RETURN scope:SCOPE_SYS
	s_wait_loadcnt 0x0
	v_cmp_eq_u64_e32 vcc_lo, v[8:9], v[10:11]
	v_mov_b64_e32 v[10:11], v[8:9]
	s_or_b32 s18, vcc_lo, s18
	s_delay_alu instid0(SALU_CYCLE_1)
	s_and_not1_b32 exec_lo, exec_lo, s18
	s_cbranch_execnz .LBB3_511
.LBB3_512:                              ;   in Loop: Header=BB3_451 Depth=1
	s_or_b32 exec_lo, exec_lo, s17
	global_load_b64 v[8:9], v13, s[4:5] offset:16
	s_mov_b32 s18, exec_lo
	s_mov_b32 s17, exec_lo
	v_mbcnt_lo_u32_b32 v1, s18, 0
	s_wait_xcnt 0x0
	s_delay_alu instid0(VALU_DEP_1)
	v_cmpx_eq_u32_e32 0, v1
	s_cbranch_execz .LBB3_514
; %bb.513:                              ;   in Loop: Header=BB3_451 Depth=1
	s_bcnt1_i32_b32 s18, s18
	s_delay_alu instid0(SALU_CYCLE_1)
	v_mov_b32_e32 v12, s18
	global_wb scope:SCOPE_SYS
	s_wait_loadcnt 0x0
	s_wait_storecnt 0x0
	global_atomic_add_u64 v[8:9], v[12:13], off offset:8 scope:SCOPE_SYS
.LBB3_514:                              ;   in Loop: Header=BB3_451 Depth=1
	s_wait_xcnt 0x0
	s_or_b32 exec_lo, exec_lo, s17
	s_wait_loadcnt 0x0
	global_load_b64 v[10:11], v[8:9], off offset:16
	s_wait_loadcnt 0x0
	v_cmp_eq_u64_e32 vcc_lo, 0, v[10:11]
	s_cbranch_vccnz .LBB3_516
; %bb.515:                              ;   in Loop: Header=BB3_451 Depth=1
	global_load_b32 v12, v[8:9], off offset:24
	s_wait_loadcnt 0x0
	v_readfirstlane_b32 s17, v12
	global_wb scope:SCOPE_SYS
	s_wait_storecnt 0x0
	s_wait_xcnt 0x0
	global_store_b64 v[10:11], v[12:13], off scope:SCOPE_SYS
	s_and_b32 m0, s17, 0xffffff
	s_sendmsg sendmsg(MSG_INTERRUPT)
.LBB3_516:                              ;   in Loop: Header=BB3_451 Depth=1
	s_wait_xcnt 0x0
	s_or_b32 exec_lo, exec_lo, s16
	v_mov_b32_e32 v5, v13
	s_delay_alu instid0(VALU_DEP_1)
	v_add_nc_u64_e32 v[8:9], v[30:31], v[4:5]
	s_branch .LBB3_520
.LBB3_517:                              ;   in Loop: Header=BB3_520 Depth=2
	s_wait_xcnt 0x0
	s_or_b32 exec_lo, exec_lo, s16
	s_delay_alu instid0(VALU_DEP_1)
	v_readfirstlane_b32 s16, v1
	s_cmp_eq_u32 s16, 0
	s_cbranch_scc1 .LBB3_519
; %bb.518:                              ;   in Loop: Header=BB3_520 Depth=2
	s_sleep 1
	s_cbranch_execnz .LBB3_520
	s_branch .LBB3_522
.LBB3_519:                              ;   in Loop: Header=BB3_451 Depth=1
	s_branch .LBB3_522
.LBB3_520:                              ;   Parent Loop BB3_451 Depth=1
                                        ; =>  This Inner Loop Header: Depth=2
	v_mov_b32_e32 v1, 1
	s_and_saveexec_b32 s16, s3
	s_cbranch_execz .LBB3_517
; %bb.521:                              ;   in Loop: Header=BB3_520 Depth=2
	global_load_b32 v1, v[32:33], off offset:20 scope:SCOPE_SYS
	s_wait_loadcnt 0x0
	global_inv scope:SCOPE_SYS
	v_and_b32_e32 v1, 1, v1
	s_branch .LBB3_517
.LBB3_522:                              ;   in Loop: Header=BB3_451 Depth=1
	global_load_b64 v[8:9], v[8:9], off
	s_wait_xcnt 0x0
	s_and_saveexec_b32 s16, s3
	s_cbranch_execz .LBB3_450
; %bb.523:                              ;   in Loop: Header=BB3_451 Depth=1
	s_clause 0x2
	global_load_b64 v[10:11], v13, s[4:5] offset:40
	global_load_b64 v[20:21], v13, s[4:5] offset:24 scope:SCOPE_SYS
	global_load_b64 v[16:17], v13, s[4:5]
	s_wait_loadcnt 0x2
	v_readfirstlane_b32 s18, v10
	v_readfirstlane_b32 s19, v11
	s_add_nc_u64 s[20:21], s[18:19], 1
	s_delay_alu instid0(SALU_CYCLE_1) | instskip(NEXT) | instid1(SALU_CYCLE_1)
	s_add_nc_u64 s[14:15], s[20:21], s[14:15]
	s_cmp_eq_u64 s[14:15], 0
	s_cselect_b32 s15, s21, s15
	s_cselect_b32 s14, s20, s14
	s_delay_alu instid0(SALU_CYCLE_1) | instskip(SKIP_1) | instid1(SALU_CYCLE_1)
	v_dual_mov_b32 v19, s15 :: v_dual_mov_b32 v18, s14
	s_and_b64 s[18:19], s[14:15], s[18:19]
	s_mul_u64 s[18:19], s[18:19], 24
	s_wait_loadcnt 0x0
	v_add_nc_u64_e32 v[10:11], s[18:19], v[16:17]
	global_store_b64 v[10:11], v[20:21], off
	global_wb scope:SCOPE_SYS
	s_wait_storecnt 0x0
	s_wait_xcnt 0x0
	global_atomic_cmpswap_b64 v[18:19], v13, v[18:21], s[4:5] offset:24 th:TH_ATOMIC_RETURN scope:SCOPE_SYS
	s_wait_loadcnt 0x0
	v_cmp_ne_u64_e32 vcc_lo, v[18:19], v[20:21]
	s_and_b32 exec_lo, exec_lo, vcc_lo
	s_cbranch_execz .LBB3_450
; %bb.524:                              ;   in Loop: Header=BB3_451 Depth=1
	s_mov_b32 s3, 0
.LBB3_525:                              ;   Parent Loop BB3_451 Depth=1
                                        ; =>  This Inner Loop Header: Depth=2
	v_dual_mov_b32 v16, s14 :: v_dual_mov_b32 v17, s15
	s_sleep 1
	global_store_b64 v[10:11], v[18:19], off
	global_wb scope:SCOPE_SYS
	s_wait_storecnt 0x0
	s_wait_xcnt 0x0
	global_atomic_cmpswap_b64 v[16:17], v13, v[16:19], s[4:5] offset:24 th:TH_ATOMIC_RETURN scope:SCOPE_SYS
	s_wait_loadcnt 0x0
	v_cmp_eq_u64_e32 vcc_lo, v[16:17], v[18:19]
	v_mov_b64_e32 v[18:19], v[16:17]
	s_or_b32 s3, vcc_lo, s3
	s_delay_alu instid0(SALU_CYCLE_1)
	s_and_not1_b32 exec_lo, exec_lo, s3
	s_cbranch_execnz .LBB3_525
	s_branch .LBB3_450
.LBB3_526:
	s_branch .LBB3_581
.LBB3_527:
	v_cmp_gt_i32_e32 vcc_lo, 1, v3
	v_cmp_gt_u32_e64 s2, s26, v4
	v_add_nc_u32_e32 v3, -1, v3
	s_and_b32 vcc_lo, vcc_lo, s2
	s_delay_alu instid0(SALU_CYCLE_1) | instskip(SKIP_1) | instid1(VALU_DEP_2)
	v_cndmask_b32_e64 v1, 0, 8, vcc_lo
	v_add_co_ci_u32_e64 v4, null, 0, v4, vcc_lo
	v_or_b32_e32 v0, v1, v0
	s_bitcmp0_b64 s[10:11], 4
	s_cbranch_scc1 .LBB3_384
.LBB3_528:
	v_cmp_gt_i32_e32 vcc_lo, 1, v3
	v_cmp_gt_u32_e64 s2, s26, v4
	v_add_nc_u32_e32 v3, -1, v3
	s_and_b32 vcc_lo, vcc_lo, s2
	s_delay_alu instid0(SALU_CYCLE_1) | instskip(SKIP_1) | instid1(VALU_DEP_2)
	v_cndmask_b32_e64 v1, 0, 16, vcc_lo
	v_add_co_ci_u32_e64 v4, null, 0, v4, vcc_lo
	v_or_b32_e32 v0, v1, v0
	s_bitcmp0_b64 s[10:11], 5
	s_cbranch_scc1 .LBB3_385
.LBB3_529:
	v_cmp_gt_i32_e32 vcc_lo, 1, v3
	v_cmp_gt_u32_e64 s2, s26, v4
	v_add_nc_u32_e32 v3, -1, v3
	s_and_b32 vcc_lo, vcc_lo, s2
	s_delay_alu instid0(SALU_CYCLE_1) | instskip(SKIP_1) | instid1(VALU_DEP_2)
	v_cndmask_b32_e64 v1, 0, 32, vcc_lo
	v_add_co_ci_u32_e64 v4, null, 0, v4, vcc_lo
	v_or_b32_e32 v0, v1, v0
	s_bitcmp0_b64 s[10:11], 6
	s_cbranch_scc1 .LBB3_386
.LBB3_530:
	v_cmp_gt_i32_e32 vcc_lo, 1, v3
	v_cmp_gt_u32_e64 s2, s26, v4
	v_add_nc_u32_e32 v3, -1, v3
	s_and_b32 vcc_lo, vcc_lo, s2
	s_delay_alu instid0(SALU_CYCLE_1) | instskip(SKIP_1) | instid1(VALU_DEP_2)
	v_cndmask_b32_e64 v1, 0, 64, vcc_lo
	v_add_co_ci_u32_e64 v4, null, 0, v4, vcc_lo
	v_or_b32_e32 v0, v1, v0
	s_bitcmp0_b64 s[10:11], 7
	s_cbranch_scc1 .LBB3_387
.LBB3_531:
	v_cmp_gt_i32_e32 vcc_lo, 1, v3
	v_cmp_gt_u32_e64 s2, s26, v4
	v_add_nc_u32_e32 v3, -1, v3
	s_and_b32 vcc_lo, vcc_lo, s2
	s_delay_alu instid0(SALU_CYCLE_1) | instskip(SKIP_1) | instid1(VALU_DEP_2)
	v_cndmask_b32_e64 v1, 0, 0x80, vcc_lo
	v_add_co_ci_u32_e64 v4, null, 0, v4, vcc_lo
	v_or_b32_e32 v0, v1, v0
	s_bitcmp0_b64 s[10:11], 8
	s_cbranch_scc1 .LBB3_388
.LBB3_532:
	v_cmp_gt_i32_e32 vcc_lo, 1, v3
	v_cmp_gt_u32_e64 s2, s26, v4
	v_add_nc_u32_e32 v3, -1, v3
	s_and_b32 vcc_lo, vcc_lo, s2
	s_delay_alu instid0(SALU_CYCLE_1) | instskip(SKIP_1) | instid1(VALU_DEP_2)
	v_cndmask_b32_e64 v1, 0, 0x100, vcc_lo
	v_add_co_ci_u32_e64 v4, null, 0, v4, vcc_lo
	v_or_b32_e32 v0, v1, v0
	s_bitcmp0_b64 s[10:11], 9
	s_cbranch_scc1 .LBB3_389
.LBB3_533:
	v_cmp_gt_i32_e32 vcc_lo, 1, v3
	v_cmp_gt_u32_e64 s2, s26, v4
	v_add_nc_u32_e32 v3, -1, v3
	s_and_b32 vcc_lo, vcc_lo, s2
	s_delay_alu instid0(SALU_CYCLE_1) | instskip(SKIP_1) | instid1(VALU_DEP_2)
	v_cndmask_b32_e64 v1, 0, 0x200, vcc_lo
	v_add_co_ci_u32_e64 v4, null, 0, v4, vcc_lo
	v_or_b32_e32 v0, v1, v0
	s_bitcmp0_b64 s[10:11], 10
	s_cbranch_scc1 .LBB3_390
.LBB3_534:
	v_cmp_gt_i32_e32 vcc_lo, 1, v3
	v_cmp_gt_u32_e64 s2, s26, v4
	v_add_nc_u32_e32 v3, -1, v3
	s_and_b32 vcc_lo, vcc_lo, s2
	s_delay_alu instid0(SALU_CYCLE_1) | instskip(SKIP_1) | instid1(VALU_DEP_2)
	v_cndmask_b32_e64 v1, 0, 0x400, vcc_lo
	v_add_co_ci_u32_e64 v4, null, 0, v4, vcc_lo
	v_or_b32_e32 v0, v1, v0
	s_bitcmp0_b64 s[10:11], 11
	s_cbranch_scc1 .LBB3_391
.LBB3_535:
	v_cmp_gt_i32_e32 vcc_lo, 1, v3
	v_cmp_gt_u32_e64 s2, s26, v4
	v_add_nc_u32_e32 v3, -1, v3
	s_and_b32 vcc_lo, vcc_lo, s2
	s_delay_alu instid0(SALU_CYCLE_1) | instskip(SKIP_1) | instid1(VALU_DEP_2)
	v_cndmask_b32_e64 v1, 0, 0x800, vcc_lo
	v_add_co_ci_u32_e64 v4, null, 0, v4, vcc_lo
	v_or_b32_e32 v0, v1, v0
	s_bitcmp0_b64 s[10:11], 12
	s_cbranch_scc1 .LBB3_392
.LBB3_536:
	v_cmp_gt_i32_e32 vcc_lo, 1, v3
	v_cmp_gt_u32_e64 s2, s26, v4
	v_add_nc_u32_e32 v3, -1, v3
	s_and_b32 vcc_lo, vcc_lo, s2
	s_delay_alu instid0(SALU_CYCLE_1) | instskip(SKIP_1) | instid1(VALU_DEP_2)
	v_cndmask_b32_e64 v1, 0, 0x1000, vcc_lo
	v_add_co_ci_u32_e64 v4, null, 0, v4, vcc_lo
	v_or_b32_e32 v0, v1, v0
	s_bitcmp0_b64 s[10:11], 13
	s_cbranch_scc1 .LBB3_393
.LBB3_537:
	v_cmp_gt_i32_e32 vcc_lo, 1, v3
	v_cmp_gt_u32_e64 s2, s26, v4
	v_add_nc_u32_e32 v3, -1, v3
	s_and_b32 vcc_lo, vcc_lo, s2
	s_delay_alu instid0(SALU_CYCLE_1) | instskip(SKIP_1) | instid1(VALU_DEP_2)
	v_cndmask_b32_e64 v1, 0, 0x2000, vcc_lo
	v_add_co_ci_u32_e64 v4, null, 0, v4, vcc_lo
	v_or_b32_e32 v0, v1, v0
	s_bitcmp0_b64 s[10:11], 14
	s_cbranch_scc1 .LBB3_394
.LBB3_538:
	v_cmp_gt_i32_e32 vcc_lo, 1, v3
	v_cmp_gt_u32_e64 s2, s26, v4
	v_add_nc_u32_e32 v3, -1, v3
	s_and_b32 vcc_lo, vcc_lo, s2
	s_delay_alu instid0(SALU_CYCLE_1) | instskip(SKIP_1) | instid1(VALU_DEP_2)
	v_cndmask_b32_e64 v1, 0, 0x4000, vcc_lo
	v_add_co_ci_u32_e64 v4, null, 0, v4, vcc_lo
	v_or_b32_e32 v0, v1, v0
	s_bitcmp0_b64 s[10:11], 15
	s_cbranch_scc1 .LBB3_395
.LBB3_539:
	v_cmp_gt_i32_e32 vcc_lo, 1, v3
	v_cmp_gt_u32_e64 s2, s26, v4
	v_add_nc_u32_e32 v3, -1, v3
	s_and_b32 vcc_lo, vcc_lo, s2
	s_delay_alu instid0(SALU_CYCLE_1) | instskip(SKIP_1) | instid1(VALU_DEP_2)
	v_cndmask_b32_e64 v1, 0, 0x8000, vcc_lo
	v_add_co_ci_u32_e64 v4, null, 0, v4, vcc_lo
	v_or_b32_e32 v0, v1, v0
	s_bitcmp0_b64 s[10:11], 16
	s_cbranch_scc1 .LBB3_396
.LBB3_540:
	v_cmp_gt_i32_e32 vcc_lo, 1, v3
	v_cmp_gt_u32_e64 s2, s26, v4
	v_add_nc_u32_e32 v3, -1, v3
	s_and_b32 vcc_lo, vcc_lo, s2
	s_delay_alu instid0(SALU_CYCLE_1) | instskip(SKIP_1) | instid1(VALU_DEP_2)
	v_cndmask_b32_e64 v1, 0, 0x10000, vcc_lo
	v_add_co_ci_u32_e64 v4, null, 0, v4, vcc_lo
	v_or_b32_e32 v0, v1, v0
	s_bitcmp0_b64 s[10:11], 17
	s_cbranch_scc1 .LBB3_397
.LBB3_541:
	v_cmp_gt_i32_e32 vcc_lo, 1, v3
	v_cmp_gt_u32_e64 s2, s26, v4
	v_add_nc_u32_e32 v3, -1, v3
	s_and_b32 vcc_lo, vcc_lo, s2
	s_delay_alu instid0(SALU_CYCLE_1) | instskip(SKIP_1) | instid1(VALU_DEP_2)
	v_cndmask_b32_e64 v1, 0, 0x20000, vcc_lo
	v_add_co_ci_u32_e64 v4, null, 0, v4, vcc_lo
	v_or_b32_e32 v0, v1, v0
	s_bitcmp0_b64 s[10:11], 18
	s_cbranch_scc1 .LBB3_398
.LBB3_542:
	v_cmp_gt_i32_e32 vcc_lo, 1, v3
	v_cmp_gt_u32_e64 s2, s26, v4
	v_add_nc_u32_e32 v3, -1, v3
	s_and_b32 vcc_lo, vcc_lo, s2
	s_delay_alu instid0(SALU_CYCLE_1) | instskip(SKIP_1) | instid1(VALU_DEP_2)
	v_cndmask_b32_e64 v1, 0, 0x40000, vcc_lo
	v_add_co_ci_u32_e64 v4, null, 0, v4, vcc_lo
	v_or_b32_e32 v0, v1, v0
	s_bitcmp0_b64 s[10:11], 19
	s_cbranch_scc1 .LBB3_399
.LBB3_543:
	v_cmp_gt_i32_e32 vcc_lo, 1, v3
	v_cmp_gt_u32_e64 s2, s26, v4
	v_add_nc_u32_e32 v3, -1, v3
	s_and_b32 vcc_lo, vcc_lo, s2
	s_delay_alu instid0(SALU_CYCLE_1) | instskip(SKIP_1) | instid1(VALU_DEP_2)
	v_cndmask_b32_e64 v1, 0, 0x80000, vcc_lo
	v_add_co_ci_u32_e64 v4, null, 0, v4, vcc_lo
	v_or_b32_e32 v0, v1, v0
	s_bitcmp0_b64 s[10:11], 20
	s_cbranch_scc1 .LBB3_400
.LBB3_544:
	v_cmp_gt_i32_e32 vcc_lo, 1, v3
	v_cmp_gt_u32_e64 s2, s26, v4
	v_add_nc_u32_e32 v3, -1, v3
	s_and_b32 vcc_lo, vcc_lo, s2
	s_delay_alu instid0(SALU_CYCLE_1) | instskip(SKIP_1) | instid1(VALU_DEP_2)
	v_cndmask_b32_e64 v1, 0, 0x100000, vcc_lo
	v_add_co_ci_u32_e64 v4, null, 0, v4, vcc_lo
	v_or_b32_e32 v0, v1, v0
	s_bitcmp0_b64 s[10:11], 21
	s_cbranch_scc1 .LBB3_401
.LBB3_545:
	v_cmp_gt_i32_e32 vcc_lo, 1, v3
	v_cmp_gt_u32_e64 s2, s26, v4
	v_add_nc_u32_e32 v3, -1, v3
	s_and_b32 vcc_lo, vcc_lo, s2
	s_delay_alu instid0(SALU_CYCLE_1) | instskip(SKIP_1) | instid1(VALU_DEP_2)
	v_cndmask_b32_e64 v1, 0, 0x200000, vcc_lo
	v_add_co_ci_u32_e64 v4, null, 0, v4, vcc_lo
	v_or_b32_e32 v0, v1, v0
	s_bitcmp0_b64 s[10:11], 22
	s_cbranch_scc1 .LBB3_402
.LBB3_546:
	v_cmp_gt_i32_e32 vcc_lo, 1, v3
	v_cmp_gt_u32_e64 s2, s26, v4
	v_add_nc_u32_e32 v3, -1, v3
	s_and_b32 vcc_lo, vcc_lo, s2
	s_delay_alu instid0(SALU_CYCLE_1) | instskip(SKIP_1) | instid1(VALU_DEP_2)
	v_cndmask_b32_e64 v1, 0, 0x400000, vcc_lo
	v_add_co_ci_u32_e64 v4, null, 0, v4, vcc_lo
	v_or_b32_e32 v0, v1, v0
	s_bitcmp0_b64 s[10:11], 23
	s_cbranch_scc1 .LBB3_403
.LBB3_547:
	v_cmp_gt_i32_e32 vcc_lo, 1, v3
	v_cmp_gt_u32_e64 s2, s26, v4
	v_add_nc_u32_e32 v3, -1, v3
	s_and_b32 vcc_lo, vcc_lo, s2
	s_delay_alu instid0(SALU_CYCLE_1) | instskip(SKIP_1) | instid1(VALU_DEP_2)
	v_cndmask_b32_e64 v1, 0, 0x800000, vcc_lo
	v_add_co_ci_u32_e64 v4, null, 0, v4, vcc_lo
	v_or_b32_e32 v0, v1, v0
	s_bitcmp0_b64 s[10:11], 24
	s_cbranch_scc1 .LBB3_404
.LBB3_548:
	v_cmp_gt_i32_e32 vcc_lo, 1, v3
	v_cmp_gt_u32_e64 s2, s26, v4
	v_add_nc_u32_e32 v3, -1, v3
	s_and_b32 vcc_lo, vcc_lo, s2
	s_delay_alu instid0(SALU_CYCLE_1) | instskip(SKIP_1) | instid1(VALU_DEP_2)
	v_cndmask_b32_e64 v1, 0, 0x1000000, vcc_lo
	v_add_co_ci_u32_e64 v4, null, 0, v4, vcc_lo
	v_or_b32_e32 v0, v1, v0
	s_bitcmp0_b64 s[10:11], 25
	s_cbranch_scc1 .LBB3_405
.LBB3_549:
	v_cmp_gt_i32_e32 vcc_lo, 1, v3
	v_cmp_gt_u32_e64 s2, s26, v4
	v_add_nc_u32_e32 v3, -1, v3
	s_and_b32 vcc_lo, vcc_lo, s2
	s_delay_alu instid0(SALU_CYCLE_1) | instskip(SKIP_1) | instid1(VALU_DEP_2)
	v_cndmask_b32_e64 v1, 0, 0x2000000, vcc_lo
	v_add_co_ci_u32_e64 v4, null, 0, v4, vcc_lo
	v_or_b32_e32 v0, v1, v0
	s_bitcmp0_b64 s[10:11], 26
	s_cbranch_scc1 .LBB3_406
.LBB3_550:
	v_cmp_gt_i32_e32 vcc_lo, 1, v3
	v_cmp_gt_u32_e64 s2, s26, v4
	v_add_nc_u32_e32 v3, -1, v3
	s_and_b32 vcc_lo, vcc_lo, s2
	s_delay_alu instid0(SALU_CYCLE_1) | instskip(SKIP_1) | instid1(VALU_DEP_2)
	v_cndmask_b32_e64 v1, 0, 0x4000000, vcc_lo
	v_add_co_ci_u32_e64 v4, null, 0, v4, vcc_lo
	v_or_b32_e32 v0, v1, v0
	s_bitcmp0_b64 s[10:11], 27
	s_cbranch_scc1 .LBB3_407
.LBB3_551:
	v_cmp_gt_i32_e32 vcc_lo, 1, v3
	v_cmp_gt_u32_e64 s2, s26, v4
	v_add_nc_u32_e32 v3, -1, v3
	s_and_b32 vcc_lo, vcc_lo, s2
	s_delay_alu instid0(SALU_CYCLE_1) | instskip(SKIP_1) | instid1(VALU_DEP_2)
	v_cndmask_b32_e64 v1, 0, 0x8000000, vcc_lo
	v_add_co_ci_u32_e64 v4, null, 0, v4, vcc_lo
	v_or_b32_e32 v0, v1, v0
	s_bitcmp0_b64 s[10:11], 28
	s_cbranch_scc1 .LBB3_408
.LBB3_552:
	v_cmp_gt_i32_e32 vcc_lo, 1, v3
	v_cmp_gt_u32_e64 s2, s26, v4
	v_add_nc_u32_e32 v3, -1, v3
	s_and_b32 vcc_lo, vcc_lo, s2
	s_delay_alu instid0(SALU_CYCLE_1) | instskip(SKIP_1) | instid1(VALU_DEP_2)
	v_cndmask_b32_e64 v1, 0, 0x10000000, vcc_lo
	v_add_co_ci_u32_e64 v4, null, 0, v4, vcc_lo
	v_or_b32_e32 v0, v1, v0
	s_bitcmp0_b64 s[10:11], 29
	s_cbranch_scc1 .LBB3_409
.LBB3_553:
	v_cmp_gt_i32_e32 vcc_lo, 1, v3
	v_cmp_gt_u32_e64 s2, s26, v4
	v_add_nc_u32_e32 v3, -1, v3
	s_and_b32 vcc_lo, vcc_lo, s2
	s_delay_alu instid0(SALU_CYCLE_1) | instskip(SKIP_1) | instid1(VALU_DEP_2)
	v_cndmask_b32_e64 v1, 0, 0x20000000, vcc_lo
	v_add_co_ci_u32_e64 v4, null, 0, v4, vcc_lo
	v_or_b32_e32 v0, v1, v0
	s_bitcmp0_b64 s[10:11], 30
	s_cbranch_scc0 .LBB3_410
	s_branch .LBB3_411
.LBB3_554:
                                        ; implicit-def: $vgpr8_vgpr9
	s_cbranch_execz .LBB3_581
; %bb.555:
	v_readfirstlane_b32 s3, v37
	v_mov_b64_e32 v[0:1], 0
	s_delay_alu instid0(VALU_DEP_2)
	v_cmp_eq_u32_e64 s3, s3, v37
	s_and_saveexec_b32 s6, s3
	s_cbranch_execz .LBB3_561
; %bb.556:
	v_mov_b32_e32 v5, 0
	s_mov_b32 s7, exec_lo
	global_load_b64 v[10:11], v5, s[4:5] offset:24 scope:SCOPE_SYS
	s_wait_loadcnt 0x0
	global_inv scope:SCOPE_SYS
	s_clause 0x1
	global_load_b64 v[0:1], v5, s[4:5] offset:40
	global_load_b64 v[8:9], v5, s[4:5]
	s_wait_loadcnt 0x1
	v_and_b32_e32 v0, v0, v10
	v_and_b32_e32 v1, v1, v11
	s_delay_alu instid0(VALU_DEP_1) | instskip(SKIP_1) | instid1(VALU_DEP_1)
	v_mul_u64_e32 v[0:1], 24, v[0:1]
	s_wait_loadcnt 0x0
	v_add_nc_u64_e32 v[0:1], v[8:9], v[0:1]
	global_load_b64 v[8:9], v[0:1], off scope:SCOPE_SYS
	s_wait_xcnt 0x0
	s_wait_loadcnt 0x0
	global_atomic_cmpswap_b64 v[0:1], v5, v[8:11], s[4:5] offset:24 th:TH_ATOMIC_RETURN scope:SCOPE_SYS
	s_wait_loadcnt 0x0
	global_inv scope:SCOPE_SYS
	s_wait_xcnt 0x0
	v_cmpx_ne_u64_e64 v[0:1], v[10:11]
	s_cbranch_execz .LBB3_560
; %bb.557:
	s_mov_b32 s10, 0
.LBB3_558:                              ; =>This Inner Loop Header: Depth=1
	s_sleep 1
	s_clause 0x1
	global_load_b64 v[8:9], v5, s[4:5] offset:40
	global_load_b64 v[12:13], v5, s[4:5]
	v_mov_b64_e32 v[10:11], v[0:1]
	s_wait_loadcnt 0x1
	s_delay_alu instid0(VALU_DEP_1) | instskip(NEXT) | instid1(VALU_DEP_2)
	v_and_b32_e32 v0, v8, v10
	v_and_b32_e32 v8, v9, v11
	s_wait_loadcnt 0x0
	s_delay_alu instid0(VALU_DEP_2) | instskip(NEXT) | instid1(VALU_DEP_1)
	v_mad_nc_u64_u32 v[0:1], v0, 24, v[12:13]
	v_mad_u32 v1, v8, 24, v1
	global_load_b64 v[8:9], v[0:1], off scope:SCOPE_SYS
	s_wait_xcnt 0x0
	s_wait_loadcnt 0x0
	global_atomic_cmpswap_b64 v[0:1], v5, v[8:11], s[4:5] offset:24 th:TH_ATOMIC_RETURN scope:SCOPE_SYS
	s_wait_loadcnt 0x0
	global_inv scope:SCOPE_SYS
	v_cmp_eq_u64_e32 vcc_lo, v[0:1], v[10:11]
	s_or_b32 s10, vcc_lo, s10
	s_wait_xcnt 0x0
	s_and_not1_b32 exec_lo, exec_lo, s10
	s_cbranch_execnz .LBB3_558
; %bb.559:
	s_or_b32 exec_lo, exec_lo, s10
.LBB3_560:
	s_delay_alu instid0(SALU_CYCLE_1)
	s_or_b32 exec_lo, exec_lo, s7
.LBB3_561:
	s_delay_alu instid0(SALU_CYCLE_1)
	s_or_b32 exec_lo, exec_lo, s6
	v_readfirstlane_b32 s6, v0
	v_mov_b32_e32 v5, 0
	v_readfirstlane_b32 s7, v1
	s_mov_b32 s10, exec_lo
	s_wait_loadcnt 0x0
	s_clause 0x1
	global_load_b64 v[8:9], v5, s[4:5] offset:40
	global_load_b128 v[10:13], v5, s[4:5]
	s_wait_loadcnt 0x1
	v_and_b32_e32 v8, s6, v8
	v_and_b32_e32 v9, s7, v9
	s_delay_alu instid0(VALU_DEP_1) | instskip(SKIP_1) | instid1(VALU_DEP_1)
	v_mul_u64_e32 v[0:1], 24, v[8:9]
	s_wait_loadcnt 0x0
	v_add_nc_u64_e32 v[0:1], v[10:11], v[0:1]
	s_wait_xcnt 0x0
	s_and_saveexec_b32 s11, s3
	s_cbranch_execz .LBB3_563
; %bb.562:
	v_mov_b64_e32 v[16:17], 0x100000002
	v_dual_mov_b32 v14, s10 :: v_dual_mov_b32 v15, v5
	global_store_b128 v[0:1], v[14:17], off offset:8
.LBB3_563:
	s_wait_xcnt 0x0
	s_or_b32 exec_lo, exec_lo, s11
	v_lshlrev_b64_e32 v[8:9], 12, v[8:9]
	s_mov_b32 s12, 0
	v_and_or_b32 v6, 0xffffff1f, v6, 32
	s_mov_b32 s14, s12
	s_mov_b32 s15, s12
	;; [unrolled: 1-line block ×3, first 2 shown]
	v_mov_b64_e32 v[16:17], s[14:15]
	v_add_nc_u64_e32 v[12:13], v[12:13], v[8:9]
	v_mov_b64_e32 v[14:15], s[12:13]
	v_dual_mov_b32 v8, v5 :: v_dual_mov_b32 v9, v5
	s_delay_alu instid0(VALU_DEP_3) | instskip(NEXT) | instid1(VALU_DEP_4)
	v_readfirstlane_b32 s10, v12
	v_readfirstlane_b32 s11, v13
	s_clause 0x3
	global_store_b128 v4, v[6:9], s[10:11]
	global_store_b128 v4, v[14:17], s[10:11] offset:16
	global_store_b128 v4, v[14:17], s[10:11] offset:32
	;; [unrolled: 1-line block ×3, first 2 shown]
	s_wait_xcnt 0x0
	s_and_saveexec_b32 s10, s3
	s_cbranch_execz .LBB3_570
; %bb.564:
	v_dual_mov_b32 v14, 0 :: v_dual_mov_b32 v17, s7
	s_mov_b32 s11, exec_lo
	s_clause 0x1
	global_load_b64 v[18:19], v14, s[4:5] offset:32 scope:SCOPE_SYS
	global_load_b64 v[6:7], v14, s[4:5] offset:40
	s_wait_loadcnt 0x0
	v_dual_mov_b32 v16, s6 :: v_dual_bitop2_b32 v7, s7, v7 bitop3:0x40
	v_and_b32_e32 v6, s6, v6
	s_delay_alu instid0(VALU_DEP_1) | instskip(NEXT) | instid1(VALU_DEP_1)
	v_mul_u64_e32 v[6:7], 24, v[6:7]
	v_add_nc_u64_e32 v[10:11], v[10:11], v[6:7]
	global_store_b64 v[10:11], v[18:19], off
	global_wb scope:SCOPE_SYS
	s_wait_storecnt 0x0
	s_wait_xcnt 0x0
	global_atomic_cmpswap_b64 v[8:9], v14, v[16:19], s[4:5] offset:32 th:TH_ATOMIC_RETURN scope:SCOPE_SYS
	s_wait_loadcnt 0x0
	v_cmpx_ne_u64_e64 v[8:9], v[18:19]
	s_cbranch_execz .LBB3_566
.LBB3_565:                              ; =>This Inner Loop Header: Depth=1
	v_dual_mov_b32 v6, s6 :: v_dual_mov_b32 v7, s7
	s_sleep 1
	global_store_b64 v[10:11], v[8:9], off
	global_wb scope:SCOPE_SYS
	s_wait_storecnt 0x0
	s_wait_xcnt 0x0
	global_atomic_cmpswap_b64 v[6:7], v14, v[6:9], s[4:5] offset:32 th:TH_ATOMIC_RETURN scope:SCOPE_SYS
	s_wait_loadcnt 0x0
	v_cmp_eq_u64_e32 vcc_lo, v[6:7], v[8:9]
	v_mov_b64_e32 v[8:9], v[6:7]
	s_or_b32 s12, vcc_lo, s12
	s_delay_alu instid0(SALU_CYCLE_1)
	s_and_not1_b32 exec_lo, exec_lo, s12
	s_cbranch_execnz .LBB3_565
.LBB3_566:
	s_or_b32 exec_lo, exec_lo, s11
	v_mov_b32_e32 v9, 0
	s_mov_b32 s12, exec_lo
	s_mov_b32 s11, exec_lo
	v_mbcnt_lo_u32_b32 v8, s12, 0
	global_load_b64 v[6:7], v9, s[4:5] offset:16
	s_wait_xcnt 0x0
	v_cmpx_eq_u32_e32 0, v8
	s_cbranch_execz .LBB3_568
; %bb.567:
	s_bcnt1_i32_b32 s12, s12
	s_delay_alu instid0(SALU_CYCLE_1)
	v_mov_b32_e32 v8, s12
	global_wb scope:SCOPE_SYS
	s_wait_loadcnt 0x0
	s_wait_storecnt 0x0
	global_atomic_add_u64 v[6:7], v[8:9], off offset:8 scope:SCOPE_SYS
.LBB3_568:
	s_wait_xcnt 0x0
	s_or_b32 exec_lo, exec_lo, s11
	s_wait_loadcnt 0x0
	global_load_b64 v[8:9], v[6:7], off offset:16
	s_wait_loadcnt 0x0
	v_cmp_eq_u64_e32 vcc_lo, 0, v[8:9]
	s_cbranch_vccnz .LBB3_570
; %bb.569:
	global_load_b32 v6, v[6:7], off offset:24
	s_wait_xcnt 0x0
	v_mov_b32_e32 v7, 0
	s_wait_loadcnt 0x0
	v_readfirstlane_b32 s11, v6
	global_wb scope:SCOPE_SYS
	s_wait_storecnt 0x0
	global_store_b64 v[8:9], v[6:7], off scope:SCOPE_SYS
	s_and_b32 m0, s11, 0xffffff
	s_sendmsg sendmsg(MSG_INTERRUPT)
.LBB3_570:
	s_wait_xcnt 0x0
	s_or_b32 exec_lo, exec_lo, s10
	v_add_nc_u64_e32 v[6:7], v[12:13], v[4:5]
	s_branch .LBB3_574
.LBB3_571:                              ;   in Loop: Header=BB3_574 Depth=1
	s_wait_xcnt 0x0
	s_or_b32 exec_lo, exec_lo, s10
	s_delay_alu instid0(VALU_DEP_1)
	v_readfirstlane_b32 s10, v5
	s_cmp_eq_u32 s10, 0
	s_cbranch_scc1 .LBB3_573
; %bb.572:                              ;   in Loop: Header=BB3_574 Depth=1
	s_sleep 1
	s_cbranch_execnz .LBB3_574
	s_branch .LBB3_576
.LBB3_573:
	s_branch .LBB3_576
.LBB3_574:                              ; =>This Inner Loop Header: Depth=1
	v_mov_b32_e32 v5, 1
	s_and_saveexec_b32 s10, s3
	s_cbranch_execz .LBB3_571
; %bb.575:                              ;   in Loop: Header=BB3_574 Depth=1
	global_load_b32 v5, v[0:1], off offset:20 scope:SCOPE_SYS
	s_wait_loadcnt 0x0
	global_inv scope:SCOPE_SYS
	v_and_b32_e32 v5, 1, v5
	s_branch .LBB3_571
.LBB3_576:
	global_load_b64 v[8:9], v[6:7], off
	s_wait_xcnt 0x0
	s_and_saveexec_b32 s10, s3
	s_cbranch_execz .LBB3_580
; %bb.577:
	v_mov_b32_e32 v5, 0
	s_clause 0x2
	global_load_b64 v[0:1], v5, s[4:5] offset:40
	global_load_b64 v[14:15], v5, s[4:5] offset:24 scope:SCOPE_SYS
	global_load_b64 v[6:7], v5, s[4:5]
	s_wait_loadcnt 0x2
	v_readfirstlane_b32 s12, v0
	v_readfirstlane_b32 s13, v1
	s_add_nc_u64 s[14:15], s[12:13], 1
	s_delay_alu instid0(SALU_CYCLE_1) | instskip(NEXT) | instid1(SALU_CYCLE_1)
	s_add_nc_u64 s[6:7], s[14:15], s[6:7]
	s_cmp_eq_u64 s[6:7], 0
	s_cselect_b32 s7, s15, s7
	s_cselect_b32 s6, s14, s6
	v_mov_b32_e32 v13, s7
	s_and_b64 s[12:13], s[6:7], s[12:13]
	v_mov_b32_e32 v12, s6
	s_mul_u64 s[12:13], s[12:13], 24
	s_wait_loadcnt 0x0
	v_add_nc_u64_e32 v[0:1], s[12:13], v[6:7]
	global_store_b64 v[0:1], v[14:15], off
	global_wb scope:SCOPE_SYS
	s_wait_storecnt 0x0
	s_wait_xcnt 0x0
	global_atomic_cmpswap_b64 v[12:13], v5, v[12:15], s[4:5] offset:24 th:TH_ATOMIC_RETURN scope:SCOPE_SYS
	s_wait_loadcnt 0x0
	v_cmp_ne_u64_e32 vcc_lo, v[12:13], v[14:15]
	s_and_b32 exec_lo, exec_lo, vcc_lo
	s_cbranch_execz .LBB3_580
; %bb.578:
	s_mov_b32 s3, 0
.LBB3_579:                              ; =>This Inner Loop Header: Depth=1
	v_dual_mov_b32 v10, s6 :: v_dual_mov_b32 v11, s7
	s_sleep 1
	global_store_b64 v[0:1], v[12:13], off
	global_wb scope:SCOPE_SYS
	s_wait_storecnt 0x0
	s_wait_xcnt 0x0
	global_atomic_cmpswap_b64 v[6:7], v5, v[10:13], s[4:5] offset:24 th:TH_ATOMIC_RETURN scope:SCOPE_SYS
	s_wait_loadcnt 0x0
	v_cmp_eq_u64_e32 vcc_lo, v[6:7], v[12:13]
	v_mov_b64_e32 v[12:13], v[6:7]
	s_or_b32 s3, vcc_lo, s3
	s_delay_alu instid0(SALU_CYCLE_1)
	s_and_not1_b32 exec_lo, exec_lo, s3
	s_cbranch_execnz .LBB3_579
.LBB3_580:
	s_or_b32 exec_lo, exec_lo, s10
.LBB3_581:
	v_readfirstlane_b32 s3, v37
	v_mov_b64_e32 v[0:1], 0
	s_delay_alu instid0(VALU_DEP_2)
	v_cmp_eq_u32_e64 s3, s3, v37
	s_and_saveexec_b32 s6, s3
	s_cbranch_execz .LBB3_587
; %bb.582:
	v_mov_b32_e32 v5, 0
	s_mov_b32 s7, exec_lo
	global_load_b64 v[12:13], v5, s[4:5] offset:24 scope:SCOPE_SYS
	s_wait_loadcnt 0x0
	global_inv scope:SCOPE_SYS
	s_clause 0x1
	global_load_b64 v[0:1], v5, s[4:5] offset:40
	global_load_b64 v[6:7], v5, s[4:5]
	s_wait_loadcnt 0x1
	v_and_b32_e32 v0, v0, v12
	v_and_b32_e32 v1, v1, v13
	s_delay_alu instid0(VALU_DEP_1) | instskip(SKIP_1) | instid1(VALU_DEP_1)
	v_mul_u64_e32 v[0:1], 24, v[0:1]
	s_wait_loadcnt 0x0
	v_add_nc_u64_e32 v[0:1], v[6:7], v[0:1]
	global_load_b64 v[10:11], v[0:1], off scope:SCOPE_SYS
	s_wait_xcnt 0x0
	s_wait_loadcnt 0x0
	global_atomic_cmpswap_b64 v[0:1], v5, v[10:13], s[4:5] offset:24 th:TH_ATOMIC_RETURN scope:SCOPE_SYS
	s_wait_loadcnt 0x0
	global_inv scope:SCOPE_SYS
	s_wait_xcnt 0x0
	v_cmpx_ne_u64_e64 v[0:1], v[12:13]
	s_cbranch_execz .LBB3_586
; %bb.583:
	s_mov_b32 s10, 0
.LBB3_584:                              ; =>This Inner Loop Header: Depth=1
	s_sleep 1
	s_clause 0x1
	global_load_b64 v[6:7], v5, s[4:5] offset:40
	global_load_b64 v[10:11], v5, s[4:5]
	v_mov_b64_e32 v[12:13], v[0:1]
	s_wait_loadcnt 0x1
	s_delay_alu instid0(VALU_DEP_1) | instskip(NEXT) | instid1(VALU_DEP_2)
	v_and_b32_e32 v0, v6, v12
	v_and_b32_e32 v6, v7, v13
	s_wait_loadcnt 0x0
	s_delay_alu instid0(VALU_DEP_2) | instskip(NEXT) | instid1(VALU_DEP_1)
	v_mad_nc_u64_u32 v[0:1], v0, 24, v[10:11]
	v_mad_u32 v1, v6, 24, v1
	global_load_b64 v[10:11], v[0:1], off scope:SCOPE_SYS
	s_wait_xcnt 0x0
	s_wait_loadcnt 0x0
	global_atomic_cmpswap_b64 v[0:1], v5, v[10:13], s[4:5] offset:24 th:TH_ATOMIC_RETURN scope:SCOPE_SYS
	s_wait_loadcnt 0x0
	global_inv scope:SCOPE_SYS
	v_cmp_eq_u64_e32 vcc_lo, v[0:1], v[12:13]
	s_or_b32 s10, vcc_lo, s10
	s_wait_xcnt 0x0
	s_and_not1_b32 exec_lo, exec_lo, s10
	s_cbranch_execnz .LBB3_584
; %bb.585:
	s_or_b32 exec_lo, exec_lo, s10
.LBB3_586:
	s_delay_alu instid0(SALU_CYCLE_1)
	s_or_b32 exec_lo, exec_lo, s7
.LBB3_587:
	s_delay_alu instid0(SALU_CYCLE_1)
	s_or_b32 exec_lo, exec_lo, s6
	v_readfirstlane_b32 s6, v0
	v_mov_b32_e32 v5, 0
	v_readfirstlane_b32 s7, v1
	s_mov_b32 s10, exec_lo
	s_wait_loadcnt 0x0
	s_clause 0x1
	global_load_b64 v[6:7], v5, s[4:5] offset:40
	global_load_b128 v[12:15], v5, s[4:5]
	s_wait_loadcnt 0x1
	v_and_b32_e32 v6, s6, v6
	v_and_b32_e32 v7, s7, v7
	s_delay_alu instid0(VALU_DEP_1) | instskip(SKIP_1) | instid1(VALU_DEP_1)
	v_mul_u64_e32 v[0:1], 24, v[6:7]
	s_wait_loadcnt 0x0
	v_add_nc_u64_e32 v[0:1], v[12:13], v[0:1]
	s_wait_xcnt 0x0
	s_and_saveexec_b32 s11, s3
	s_cbranch_execz .LBB3_589
; %bb.588:
	v_mov_b64_e32 v[18:19], 0x100000002
	v_dual_mov_b32 v16, s10 :: v_dual_mov_b32 v17, v5
	global_store_b128 v[0:1], v[16:19], off offset:8
.LBB3_589:
	s_wait_xcnt 0x0
	s_or_b32 exec_lo, exec_lo, s11
	v_lshlrev_b64_e32 v[6:7], 12, v[6:7]
	s_mov_b32 s12, 0
	v_dual_mov_b32 v11, v5 :: v_dual_add_nc_u32 v10, -1, v39
	s_mov_b32 s14, s12
	s_mov_b32 s15, s12
	;; [unrolled: 1-line block ×3, first 2 shown]
	s_delay_alu instid0(VALU_DEP_2) | instskip(SKIP_3) | instid1(VALU_DEP_4)
	v_add_nc_u64_e32 v[14:15], v[14:15], v[6:7]
	v_mov_b64_e32 v[18:19], s[14:15]
	v_mov_b64_e32 v[16:17], s[12:13]
	v_and_or_b32 v8, 0xffffff1f, v8, 32
	v_readfirstlane_b32 s10, v14
	v_readfirstlane_b32 s11, v15
	s_clause 0x3
	global_store_b128 v4, v[8:11], s[10:11]
	global_store_b128 v4, v[16:19], s[10:11] offset:16
	global_store_b128 v4, v[16:19], s[10:11] offset:32
	;; [unrolled: 1-line block ×3, first 2 shown]
	s_wait_xcnt 0x0
	s_and_saveexec_b32 s10, s3
	s_cbranch_execz .LBB3_596
; %bb.590:
	v_dual_mov_b32 v16, 0 :: v_dual_mov_b32 v19, s7
	s_mov_b32 s11, exec_lo
	s_clause 0x1
	global_load_b64 v[20:21], v16, s[4:5] offset:32 scope:SCOPE_SYS
	global_load_b64 v[6:7], v16, s[4:5] offset:40
	s_wait_loadcnt 0x0
	v_dual_mov_b32 v18, s6 :: v_dual_bitop2_b32 v7, s7, v7 bitop3:0x40
	v_and_b32_e32 v6, s6, v6
	s_delay_alu instid0(VALU_DEP_1) | instskip(NEXT) | instid1(VALU_DEP_1)
	v_mul_u64_e32 v[6:7], 24, v[6:7]
	v_add_nc_u64_e32 v[10:11], v[12:13], v[6:7]
	global_store_b64 v[10:11], v[20:21], off
	global_wb scope:SCOPE_SYS
	s_wait_storecnt 0x0
	s_wait_xcnt 0x0
	global_atomic_cmpswap_b64 v[8:9], v16, v[18:21], s[4:5] offset:32 th:TH_ATOMIC_RETURN scope:SCOPE_SYS
	s_wait_loadcnt 0x0
	v_cmpx_ne_u64_e64 v[8:9], v[20:21]
	s_cbranch_execz .LBB3_592
.LBB3_591:                              ; =>This Inner Loop Header: Depth=1
	v_dual_mov_b32 v6, s6 :: v_dual_mov_b32 v7, s7
	s_sleep 1
	global_store_b64 v[10:11], v[8:9], off
	global_wb scope:SCOPE_SYS
	s_wait_storecnt 0x0
	s_wait_xcnt 0x0
	global_atomic_cmpswap_b64 v[6:7], v16, v[6:9], s[4:5] offset:32 th:TH_ATOMIC_RETURN scope:SCOPE_SYS
	s_wait_loadcnt 0x0
	v_cmp_eq_u64_e32 vcc_lo, v[6:7], v[8:9]
	v_mov_b64_e32 v[8:9], v[6:7]
	s_or_b32 s12, vcc_lo, s12
	s_delay_alu instid0(SALU_CYCLE_1)
	s_and_not1_b32 exec_lo, exec_lo, s12
	s_cbranch_execnz .LBB3_591
.LBB3_592:
	s_or_b32 exec_lo, exec_lo, s11
	v_mov_b32_e32 v9, 0
	s_mov_b32 s12, exec_lo
	s_mov_b32 s11, exec_lo
	v_mbcnt_lo_u32_b32 v8, s12, 0
	global_load_b64 v[6:7], v9, s[4:5] offset:16
	s_wait_xcnt 0x0
	v_cmpx_eq_u32_e32 0, v8
	s_cbranch_execz .LBB3_594
; %bb.593:
	s_bcnt1_i32_b32 s12, s12
	s_delay_alu instid0(SALU_CYCLE_1)
	v_mov_b32_e32 v8, s12
	global_wb scope:SCOPE_SYS
	s_wait_loadcnt 0x0
	s_wait_storecnt 0x0
	global_atomic_add_u64 v[6:7], v[8:9], off offset:8 scope:SCOPE_SYS
.LBB3_594:
	s_wait_xcnt 0x0
	s_or_b32 exec_lo, exec_lo, s11
	s_wait_loadcnt 0x0
	global_load_b64 v[8:9], v[6:7], off offset:16
	s_wait_loadcnt 0x0
	v_cmp_eq_u64_e32 vcc_lo, 0, v[8:9]
	s_cbranch_vccnz .LBB3_596
; %bb.595:
	global_load_b32 v6, v[6:7], off offset:24
	s_wait_xcnt 0x0
	v_mov_b32_e32 v7, 0
	s_wait_loadcnt 0x0
	v_readfirstlane_b32 s11, v6
	global_wb scope:SCOPE_SYS
	s_wait_storecnt 0x0
	global_store_b64 v[8:9], v[6:7], off scope:SCOPE_SYS
	s_and_b32 m0, s11, 0xffffff
	s_sendmsg sendmsg(MSG_INTERRUPT)
.LBB3_596:
	s_wait_xcnt 0x0
	s_or_b32 exec_lo, exec_lo, s10
	v_add_nc_u64_e32 v[6:7], v[14:15], v[4:5]
	s_branch .LBB3_600
.LBB3_597:                              ;   in Loop: Header=BB3_600 Depth=1
	s_wait_xcnt 0x0
	s_or_b32 exec_lo, exec_lo, s10
	s_delay_alu instid0(VALU_DEP_1)
	v_readfirstlane_b32 s10, v5
	s_cmp_eq_u32 s10, 0
	s_cbranch_scc1 .LBB3_599
; %bb.598:                              ;   in Loop: Header=BB3_600 Depth=1
	s_sleep 1
	s_cbranch_execnz .LBB3_600
	s_branch .LBB3_602
.LBB3_599:
	s_branch .LBB3_602
.LBB3_600:                              ; =>This Inner Loop Header: Depth=1
	v_mov_b32_e32 v5, 1
	s_and_saveexec_b32 s10, s3
	s_cbranch_execz .LBB3_597
; %bb.601:                              ;   in Loop: Header=BB3_600 Depth=1
	global_load_b32 v5, v[0:1], off offset:20 scope:SCOPE_SYS
	s_wait_loadcnt 0x0
	global_inv scope:SCOPE_SYS
	v_and_b32_e32 v5, 1, v5
	s_branch .LBB3_597
.LBB3_602:
	global_load_b64 v[6:7], v[6:7], off
	s_wait_xcnt 0x0
	s_and_saveexec_b32 s10, s3
	s_cbranch_execz .LBB3_606
; %bb.603:
	v_mov_b32_e32 v5, 0
	s_clause 0x2
	global_load_b64 v[0:1], v5, s[4:5] offset:40
	global_load_b64 v[12:13], v5, s[4:5] offset:24 scope:SCOPE_SYS
	global_load_b64 v[8:9], v5, s[4:5]
	s_wait_loadcnt 0x2
	v_readfirstlane_b32 s12, v0
	v_readfirstlane_b32 s13, v1
	s_add_nc_u64 s[14:15], s[12:13], 1
	s_delay_alu instid0(SALU_CYCLE_1) | instskip(NEXT) | instid1(SALU_CYCLE_1)
	s_add_nc_u64 s[6:7], s[14:15], s[6:7]
	s_cmp_eq_u64 s[6:7], 0
	s_cselect_b32 s7, s15, s7
	s_cselect_b32 s6, s14, s6
	v_mov_b32_e32 v11, s7
	s_and_b64 s[12:13], s[6:7], s[12:13]
	v_mov_b32_e32 v10, s6
	s_mul_u64 s[12:13], s[12:13], 24
	s_wait_loadcnt 0x0
	v_add_nc_u64_e32 v[0:1], s[12:13], v[8:9]
	global_store_b64 v[0:1], v[12:13], off
	global_wb scope:SCOPE_SYS
	s_wait_storecnt 0x0
	s_wait_xcnt 0x0
	global_atomic_cmpswap_b64 v[10:11], v5, v[10:13], s[4:5] offset:24 th:TH_ATOMIC_RETURN scope:SCOPE_SYS
	s_wait_loadcnt 0x0
	v_cmp_ne_u64_e32 vcc_lo, v[10:11], v[12:13]
	s_and_b32 exec_lo, exec_lo, vcc_lo
	s_cbranch_execz .LBB3_606
; %bb.604:
	s_mov_b32 s3, 0
.LBB3_605:                              ; =>This Inner Loop Header: Depth=1
	v_dual_mov_b32 v8, s6 :: v_dual_mov_b32 v9, s7
	s_sleep 1
	global_store_b64 v[0:1], v[10:11], off
	global_wb scope:SCOPE_SYS
	s_wait_storecnt 0x0
	s_wait_xcnt 0x0
	global_atomic_cmpswap_b64 v[8:9], v5, v[8:11], s[4:5] offset:24 th:TH_ATOMIC_RETURN scope:SCOPE_SYS
	s_wait_loadcnt 0x0
	v_cmp_eq_u64_e32 vcc_lo, v[8:9], v[10:11]
	v_mov_b64_e32 v[10:11], v[8:9]
	s_or_b32 s3, vcc_lo, s3
	s_delay_alu instid0(SALU_CYCLE_1)
	s_and_not1_b32 exec_lo, exec_lo, s3
	s_cbranch_execnz .LBB3_605
.LBB3_606:
	s_or_b32 exec_lo, exec_lo, s10
	v_readfirstlane_b32 s3, v37
	v_mov_b64_e32 v[0:1], 0
	s_delay_alu instid0(VALU_DEP_2)
	v_cmp_eq_u32_e64 s3, s3, v37
	s_and_saveexec_b32 s6, s3
	s_cbranch_execz .LBB3_612
; %bb.607:
	v_mov_b32_e32 v5, 0
	s_mov_b32 s7, exec_lo
	global_load_b64 v[10:11], v5, s[4:5] offset:24 scope:SCOPE_SYS
	s_wait_loadcnt 0x0
	global_inv scope:SCOPE_SYS
	s_clause 0x1
	global_load_b64 v[0:1], v5, s[4:5] offset:40
	global_load_b64 v[8:9], v5, s[4:5]
	s_wait_loadcnt 0x1
	v_and_b32_e32 v0, v0, v10
	v_and_b32_e32 v1, v1, v11
	s_delay_alu instid0(VALU_DEP_1) | instskip(SKIP_1) | instid1(VALU_DEP_1)
	v_mul_u64_e32 v[0:1], 24, v[0:1]
	s_wait_loadcnt 0x0
	v_add_nc_u64_e32 v[0:1], v[8:9], v[0:1]
	global_load_b64 v[8:9], v[0:1], off scope:SCOPE_SYS
	s_wait_xcnt 0x0
	s_wait_loadcnt 0x0
	global_atomic_cmpswap_b64 v[0:1], v5, v[8:11], s[4:5] offset:24 th:TH_ATOMIC_RETURN scope:SCOPE_SYS
	s_wait_loadcnt 0x0
	global_inv scope:SCOPE_SYS
	s_wait_xcnt 0x0
	v_cmpx_ne_u64_e64 v[0:1], v[10:11]
	s_cbranch_execz .LBB3_611
; %bb.608:
	s_mov_b32 s10, 0
.LBB3_609:                              ; =>This Inner Loop Header: Depth=1
	s_sleep 1
	s_clause 0x1
	global_load_b64 v[8:9], v5, s[4:5] offset:40
	global_load_b64 v[12:13], v5, s[4:5]
	v_mov_b64_e32 v[10:11], v[0:1]
	s_wait_loadcnt 0x1
	s_delay_alu instid0(VALU_DEP_1) | instskip(NEXT) | instid1(VALU_DEP_2)
	v_and_b32_e32 v0, v8, v10
	v_and_b32_e32 v8, v9, v11
	s_wait_loadcnt 0x0
	s_delay_alu instid0(VALU_DEP_2) | instskip(NEXT) | instid1(VALU_DEP_1)
	v_mad_nc_u64_u32 v[0:1], v0, 24, v[12:13]
	v_mad_u32 v1, v8, 24, v1
	global_load_b64 v[8:9], v[0:1], off scope:SCOPE_SYS
	s_wait_xcnt 0x0
	s_wait_loadcnt 0x0
	global_atomic_cmpswap_b64 v[0:1], v5, v[8:11], s[4:5] offset:24 th:TH_ATOMIC_RETURN scope:SCOPE_SYS
	s_wait_loadcnt 0x0
	global_inv scope:SCOPE_SYS
	v_cmp_eq_u64_e32 vcc_lo, v[0:1], v[10:11]
	s_or_b32 s10, vcc_lo, s10
	s_wait_xcnt 0x0
	s_and_not1_b32 exec_lo, exec_lo, s10
	s_cbranch_execnz .LBB3_609
; %bb.610:
	s_or_b32 exec_lo, exec_lo, s10
.LBB3_611:
	s_delay_alu instid0(SALU_CYCLE_1)
	s_or_b32 exec_lo, exec_lo, s7
.LBB3_612:
	s_delay_alu instid0(SALU_CYCLE_1)
	s_or_b32 exec_lo, exec_lo, s6
	v_readfirstlane_b32 s6, v0
	v_mov_b32_e32 v5, 0
	v_readfirstlane_b32 s7, v1
	s_mov_b32 s10, exec_lo
	s_clause 0x1
	global_load_b64 v[8:9], v5, s[4:5] offset:40
	global_load_b128 v[10:13], v5, s[4:5]
	s_wait_loadcnt 0x1
	v_and_b32_e32 v8, s6, v8
	v_and_b32_e32 v9, s7, v9
	s_delay_alu instid0(VALU_DEP_1) | instskip(SKIP_1) | instid1(VALU_DEP_1)
	v_mul_u64_e32 v[0:1], 24, v[8:9]
	s_wait_loadcnt 0x0
	v_add_nc_u64_e32 v[0:1], v[10:11], v[0:1]
	s_wait_xcnt 0x0
	s_and_saveexec_b32 s11, s3
	s_cbranch_execz .LBB3_614
; %bb.613:
	v_mov_b64_e32 v[16:17], 0x100000002
	v_dual_mov_b32 v14, s10 :: v_dual_mov_b32 v15, v5
	global_store_b128 v[0:1], v[14:17], off offset:8
.LBB3_614:
	s_wait_xcnt 0x0
	s_or_b32 exec_lo, exec_lo, s11
	v_lshlrev_b64_e32 v[14:15], 12, v[8:9]
	s_mov_b32 s12, 0
	v_dual_cndmask_b32 v8, -1, v38, s2 :: v_dual_mov_b32 v9, v5
	s_mov_b32 s14, s12
	s_mov_b32 s15, s12
	;; [unrolled: 1-line block ×3, first 2 shown]
	s_delay_alu instid0(VALU_DEP_2) | instskip(SKIP_3) | instid1(VALU_DEP_4)
	v_add_nc_u64_e32 v[14:15], v[12:13], v[14:15]
	v_mov_b64_e32 v[18:19], s[14:15]
	v_mov_b64_e32 v[16:17], s[12:13]
	v_and_or_b32 v6, 0xffffff1f, v6, 32
	v_readfirstlane_b32 s10, v14
	v_readfirstlane_b32 s11, v15
	s_clause 0x3
	global_store_b128 v4, v[6:9], s[10:11]
	global_store_b128 v4, v[16:19], s[10:11] offset:16
	global_store_b128 v4, v[16:19], s[10:11] offset:32
	;; [unrolled: 1-line block ×3, first 2 shown]
	s_wait_xcnt 0x0
	s_and_saveexec_b32 s2, s3
	s_cbranch_execz .LBB3_622
; %bb.615:
	v_dual_mov_b32 v9, 0 :: v_dual_mov_b32 v17, s7
	s_mov_b32 s10, exec_lo
	s_clause 0x1
	global_load_b64 v[18:19], v9, s[4:5] offset:32 scope:SCOPE_SYS
	global_load_b64 v[6:7], v9, s[4:5] offset:40
	s_wait_loadcnt 0x0
	v_dual_mov_b32 v16, s6 :: v_dual_bitop2_b32 v7, s7, v7 bitop3:0x40
	v_and_b32_e32 v6, s6, v6
	s_delay_alu instid0(VALU_DEP_1) | instskip(NEXT) | instid1(VALU_DEP_1)
	v_mul_u64_e32 v[6:7], 24, v[6:7]
	v_add_nc_u64_e32 v[6:7], v[10:11], v[6:7]
	global_store_b64 v[6:7], v[18:19], off
	global_wb scope:SCOPE_SYS
	s_wait_storecnt 0x0
	s_wait_xcnt 0x0
	global_atomic_cmpswap_b64 v[12:13], v9, v[16:19], s[4:5] offset:32 th:TH_ATOMIC_RETURN scope:SCOPE_SYS
	s_wait_loadcnt 0x0
	v_cmpx_ne_u64_e64 v[12:13], v[18:19]
	s_cbranch_execz .LBB3_618
; %bb.616:
	s_mov_b32 s11, 0
.LBB3_617:                              ; =>This Inner Loop Header: Depth=1
	v_dual_mov_b32 v10, s6 :: v_dual_mov_b32 v11, s7
	s_sleep 1
	global_store_b64 v[6:7], v[12:13], off
	global_wb scope:SCOPE_SYS
	s_wait_storecnt 0x0
	s_wait_xcnt 0x0
	global_atomic_cmpswap_b64 v[10:11], v9, v[10:13], s[4:5] offset:32 th:TH_ATOMIC_RETURN scope:SCOPE_SYS
	s_wait_loadcnt 0x0
	v_cmp_eq_u64_e32 vcc_lo, v[10:11], v[12:13]
	v_mov_b64_e32 v[12:13], v[10:11]
	s_or_b32 s11, vcc_lo, s11
	s_delay_alu instid0(SALU_CYCLE_1)
	s_and_not1_b32 exec_lo, exec_lo, s11
	s_cbranch_execnz .LBB3_617
.LBB3_618:
	s_or_b32 exec_lo, exec_lo, s10
	v_mov_b32_e32 v11, 0
	s_mov_b32 s11, exec_lo
	s_mov_b32 s10, exec_lo
	v_mbcnt_lo_u32_b32 v9, s11, 0
	global_load_b64 v[6:7], v11, s[4:5] offset:16
	s_wait_xcnt 0x0
	v_cmpx_eq_u32_e32 0, v9
	s_cbranch_execz .LBB3_620
; %bb.619:
	s_bcnt1_i32_b32 s11, s11
	s_delay_alu instid0(SALU_CYCLE_1)
	v_mov_b32_e32 v10, s11
	global_wb scope:SCOPE_SYS
	s_wait_loadcnt 0x0
	s_wait_storecnt 0x0
	global_atomic_add_u64 v[6:7], v[10:11], off offset:8 scope:SCOPE_SYS
.LBB3_620:
	s_wait_xcnt 0x0
	s_or_b32 exec_lo, exec_lo, s10
	s_wait_loadcnt 0x0
	global_load_b64 v[10:11], v[6:7], off offset:16
	s_wait_loadcnt 0x0
	v_cmp_eq_u64_e32 vcc_lo, 0, v[10:11]
	s_cbranch_vccnz .LBB3_622
; %bb.621:
	global_load_b32 v6, v[6:7], off offset:24
	s_wait_xcnt 0x0
	v_mov_b32_e32 v7, 0
	s_wait_loadcnt 0x0
	v_readfirstlane_b32 s10, v6
	global_wb scope:SCOPE_SYS
	s_wait_storecnt 0x0
	global_store_b64 v[10:11], v[6:7], off scope:SCOPE_SYS
	s_and_b32 m0, s10, 0xffffff
	s_sendmsg sendmsg(MSG_INTERRUPT)
.LBB3_622:
	s_wait_xcnt 0x0
	s_or_b32 exec_lo, exec_lo, s2
	v_add_nc_u64_e32 v[6:7], v[14:15], v[4:5]
	s_branch .LBB3_626
.LBB3_623:                              ;   in Loop: Header=BB3_626 Depth=1
	s_wait_xcnt 0x0
	s_or_b32 exec_lo, exec_lo, s2
	s_delay_alu instid0(VALU_DEP_1)
	v_readfirstlane_b32 s2, v5
	s_cmp_eq_u32 s2, 0
	s_cbranch_scc1 .LBB3_625
; %bb.624:                              ;   in Loop: Header=BB3_626 Depth=1
	s_sleep 1
	s_cbranch_execnz .LBB3_626
	s_branch .LBB3_628
.LBB3_625:
	s_branch .LBB3_628
.LBB3_626:                              ; =>This Inner Loop Header: Depth=1
	v_mov_b32_e32 v5, 1
	s_and_saveexec_b32 s2, s3
	s_cbranch_execz .LBB3_623
; %bb.627:                              ;   in Loop: Header=BB3_626 Depth=1
	global_load_b32 v5, v[0:1], off offset:20 scope:SCOPE_SYS
	s_wait_loadcnt 0x0
	global_inv scope:SCOPE_SYS
	v_and_b32_e32 v5, 1, v5
	s_branch .LBB3_623
.LBB3_628:
	global_load_b64 v[0:1], v[6:7], off
	s_wait_xcnt 0x0
	s_and_saveexec_b32 s10, s3
	s_cbranch_execz .LBB3_632
; %bb.629:
	v_mov_b32_e32 v5, 0
	s_clause 0x2
	global_load_b64 v[6:7], v5, s[4:5] offset:40
	global_load_b64 v[14:15], v5, s[4:5] offset:24 scope:SCOPE_SYS
	global_load_b64 v[10:11], v5, s[4:5]
	s_wait_loadcnt 0x2
	v_readfirstlane_b32 s12, v6
	v_readfirstlane_b32 s13, v7
	s_add_nc_u64 s[2:3], s[12:13], 1
	s_delay_alu instid0(SALU_CYCLE_1) | instskip(NEXT) | instid1(SALU_CYCLE_1)
	s_add_nc_u64 s[6:7], s[2:3], s[6:7]
	s_cmp_eq_u64 s[6:7], 0
	s_cselect_b32 s3, s3, s7
	s_cselect_b32 s2, s2, s6
	v_mov_b32_e32 v13, s3
	s_and_b64 s[6:7], s[2:3], s[12:13]
	v_mov_b32_e32 v12, s2
	s_mul_u64 s[6:7], s[6:7], 24
	s_wait_loadcnt 0x0
	v_add_nc_u64_e32 v[6:7], s[6:7], v[10:11]
	global_store_b64 v[6:7], v[14:15], off
	global_wb scope:SCOPE_SYS
	s_wait_storecnt 0x0
	s_wait_xcnt 0x0
	global_atomic_cmpswap_b64 v[12:13], v5, v[12:15], s[4:5] offset:24 th:TH_ATOMIC_RETURN scope:SCOPE_SYS
	s_wait_loadcnt 0x0
	v_cmp_ne_u64_e32 vcc_lo, v[12:13], v[14:15]
	s_and_b32 exec_lo, exec_lo, vcc_lo
	s_cbranch_execz .LBB3_632
; %bb.630:
	s_mov_b32 s6, 0
.LBB3_631:                              ; =>This Inner Loop Header: Depth=1
	v_dual_mov_b32 v10, s2 :: v_dual_mov_b32 v11, s3
	s_sleep 1
	global_store_b64 v[6:7], v[12:13], off
	global_wb scope:SCOPE_SYS
	s_wait_storecnt 0x0
	s_wait_xcnt 0x0
	global_atomic_cmpswap_b64 v[10:11], v5, v[10:13], s[4:5] offset:24 th:TH_ATOMIC_RETURN scope:SCOPE_SYS
	s_wait_loadcnt 0x0
	v_cmp_eq_u64_e32 vcc_lo, v[10:11], v[12:13]
	v_mov_b64_e32 v[12:13], v[10:11]
	s_or_b32 s6, vcc_lo, s6
	s_delay_alu instid0(SALU_CYCLE_1)
	s_and_not1_b32 exec_lo, exec_lo, s6
	s_cbranch_execnz .LBB3_631
.LBB3_632:
	s_or_b32 exec_lo, exec_lo, s10
	v_readfirstlane_b32 s2, v37
	v_mov_b64_e32 v[6:7], 0
	s_delay_alu instid0(VALU_DEP_2)
	v_cmp_eq_u32_e64 s2, s2, v37
	s_and_saveexec_b32 s3, s2
	s_cbranch_execz .LBB3_638
; %bb.633:
	v_mov_b32_e32 v5, 0
	s_mov_b32 s6, exec_lo
	global_load_b64 v[12:13], v5, s[4:5] offset:24 scope:SCOPE_SYS
	s_wait_loadcnt 0x0
	global_inv scope:SCOPE_SYS
	s_clause 0x1
	global_load_b64 v[6:7], v5, s[4:5] offset:40
	global_load_b64 v[10:11], v5, s[4:5]
	s_wait_loadcnt 0x1
	v_and_b32_e32 v6, v6, v12
	v_and_b32_e32 v7, v7, v13
	s_delay_alu instid0(VALU_DEP_1) | instskip(SKIP_1) | instid1(VALU_DEP_1)
	v_mul_u64_e32 v[6:7], 24, v[6:7]
	s_wait_loadcnt 0x0
	v_add_nc_u64_e32 v[6:7], v[10:11], v[6:7]
	global_load_b64 v[10:11], v[6:7], off scope:SCOPE_SYS
	s_wait_xcnt 0x0
	s_wait_loadcnt 0x0
	global_atomic_cmpswap_b64 v[6:7], v5, v[10:13], s[4:5] offset:24 th:TH_ATOMIC_RETURN scope:SCOPE_SYS
	s_wait_loadcnt 0x0
	global_inv scope:SCOPE_SYS
	s_wait_xcnt 0x0
	v_cmpx_ne_u64_e64 v[6:7], v[12:13]
	s_cbranch_execz .LBB3_637
; %bb.634:
	s_mov_b32 s7, 0
.LBB3_635:                              ; =>This Inner Loop Header: Depth=1
	s_sleep 1
	s_clause 0x1
	global_load_b64 v[10:11], v5, s[4:5] offset:40
	global_load_b64 v[14:15], v5, s[4:5]
	v_mov_b64_e32 v[12:13], v[6:7]
	s_wait_loadcnt 0x1
	s_delay_alu instid0(VALU_DEP_1) | instskip(NEXT) | instid1(VALU_DEP_2)
	v_and_b32_e32 v6, v10, v12
	v_and_b32_e32 v9, v11, v13
	s_wait_loadcnt 0x0
	s_delay_alu instid0(VALU_DEP_2) | instskip(NEXT) | instid1(VALU_DEP_1)
	v_mad_nc_u64_u32 v[6:7], v6, 24, v[14:15]
	v_mad_u32 v7, v9, 24, v7
	global_load_b64 v[10:11], v[6:7], off scope:SCOPE_SYS
	s_wait_xcnt 0x0
	s_wait_loadcnt 0x0
	global_atomic_cmpswap_b64 v[6:7], v5, v[10:13], s[4:5] offset:24 th:TH_ATOMIC_RETURN scope:SCOPE_SYS
	s_wait_loadcnt 0x0
	global_inv scope:SCOPE_SYS
	v_cmp_eq_u64_e32 vcc_lo, v[6:7], v[12:13]
	s_or_b32 s7, vcc_lo, s7
	s_wait_xcnt 0x0
	s_and_not1_b32 exec_lo, exec_lo, s7
	s_cbranch_execnz .LBB3_635
; %bb.636:
	s_or_b32 exec_lo, exec_lo, s7
.LBB3_637:
	s_delay_alu instid0(SALU_CYCLE_1)
	s_or_b32 exec_lo, exec_lo, s6
.LBB3_638:
	s_delay_alu instid0(SALU_CYCLE_1)
	s_or_b32 exec_lo, exec_lo, s3
	v_readfirstlane_b32 s6, v6
	v_mov_b32_e32 v5, 0
	v_readfirstlane_b32 s7, v7
	s_mov_b32 s3, exec_lo
	s_clause 0x1
	global_load_b64 v[14:15], v5, s[4:5] offset:40
	global_load_b128 v[10:13], v5, s[4:5]
	s_wait_loadcnt 0x1
	v_and_b32_e32 v14, s6, v14
	v_and_b32_e32 v15, s7, v15
	s_delay_alu instid0(VALU_DEP_1) | instskip(SKIP_1) | instid1(VALU_DEP_1)
	v_mul_u64_e32 v[6:7], 24, v[14:15]
	s_wait_loadcnt 0x0
	v_add_nc_u64_e32 v[6:7], v[10:11], v[6:7]
	s_wait_xcnt 0x0
	s_and_saveexec_b32 s10, s2
	s_cbranch_execz .LBB3_640
; %bb.639:
	v_mov_b64_e32 v[18:19], 0x100000002
	v_dual_mov_b32 v16, s3 :: v_dual_mov_b32 v17, v5
	global_store_b128 v[6:7], v[16:19], off offset:8
.LBB3_640:
	s_wait_xcnt 0x0
	s_or_b32 exec_lo, exec_lo, s10
	v_lshlrev_b64_e32 v[14:15], 12, v[14:15]
	s_mov_b32 s12, 0
	v_and_or_b32 v0, 0xffffff1f, v0, 32
	s_mov_b32 s14, s12
	s_mov_b32 s15, s12
	;; [unrolled: 1-line block ×3, first 2 shown]
	s_delay_alu instid0(VALU_DEP_2) | instskip(SKIP_2) | instid1(VALU_DEP_3)
	v_add_nc_u64_e32 v[12:13], v[12:13], v[14:15]
	v_mov_b64_e32 v[16:17], s[14:15]
	v_mov_b64_e32 v[14:15], s[12:13]
	v_readfirstlane_b32 s10, v12
	s_delay_alu instid0(VALU_DEP_4)
	v_readfirstlane_b32 s11, v13
	s_clause 0x3
	global_store_b128 v4, v[0:3], s[10:11]
	global_store_b128 v4, v[14:17], s[10:11] offset:16
	global_store_b128 v4, v[14:17], s[10:11] offset:32
	;; [unrolled: 1-line block ×3, first 2 shown]
	s_wait_xcnt 0x0
	s_and_saveexec_b32 s3, s2
	s_cbranch_execz .LBB3_648
; %bb.641:
	v_dual_mov_b32 v9, 0 :: v_dual_mov_b32 v15, s7
	s_mov_b32 s10, exec_lo
	s_clause 0x1
	global_load_b64 v[16:17], v9, s[4:5] offset:32 scope:SCOPE_SYS
	global_load_b64 v[0:1], v9, s[4:5] offset:40
	s_wait_loadcnt 0x0
	v_dual_mov_b32 v14, s6 :: v_dual_bitop2_b32 v1, s7, v1 bitop3:0x40
	v_and_b32_e32 v0, s6, v0
	s_delay_alu instid0(VALU_DEP_1) | instskip(NEXT) | instid1(VALU_DEP_1)
	v_mul_u64_e32 v[0:1], 24, v[0:1]
	v_add_nc_u64_e32 v[10:11], v[10:11], v[0:1]
	global_store_b64 v[10:11], v[16:17], off
	global_wb scope:SCOPE_SYS
	s_wait_storecnt 0x0
	s_wait_xcnt 0x0
	global_atomic_cmpswap_b64 v[2:3], v9, v[14:17], s[4:5] offset:32 th:TH_ATOMIC_RETURN scope:SCOPE_SYS
	s_wait_loadcnt 0x0
	v_cmpx_ne_u64_e64 v[2:3], v[16:17]
	s_cbranch_execz .LBB3_644
; %bb.642:
	s_mov_b32 s11, 0
.LBB3_643:                              ; =>This Inner Loop Header: Depth=1
	v_dual_mov_b32 v0, s6 :: v_dual_mov_b32 v1, s7
	s_sleep 1
	global_store_b64 v[10:11], v[2:3], off
	global_wb scope:SCOPE_SYS
	s_wait_storecnt 0x0
	s_wait_xcnt 0x0
	global_atomic_cmpswap_b64 v[0:1], v9, v[0:3], s[4:5] offset:32 th:TH_ATOMIC_RETURN scope:SCOPE_SYS
	s_wait_loadcnt 0x0
	v_cmp_eq_u64_e32 vcc_lo, v[0:1], v[2:3]
	v_mov_b64_e32 v[2:3], v[0:1]
	s_or_b32 s11, vcc_lo, s11
	s_delay_alu instid0(SALU_CYCLE_1)
	s_and_not1_b32 exec_lo, exec_lo, s11
	s_cbranch_execnz .LBB3_643
.LBB3_644:
	s_or_b32 exec_lo, exec_lo, s10
	v_mov_b32_e32 v3, 0
	s_mov_b32 s11, exec_lo
	s_mov_b32 s10, exec_lo
	v_mbcnt_lo_u32_b32 v2, s11, 0
	global_load_b64 v[0:1], v3, s[4:5] offset:16
	s_wait_xcnt 0x0
	v_cmpx_eq_u32_e32 0, v2
	s_cbranch_execz .LBB3_646
; %bb.645:
	s_bcnt1_i32_b32 s11, s11
	s_delay_alu instid0(SALU_CYCLE_1)
	v_mov_b32_e32 v2, s11
	global_wb scope:SCOPE_SYS
	s_wait_loadcnt 0x0
	s_wait_storecnt 0x0
	global_atomic_add_u64 v[0:1], v[2:3], off offset:8 scope:SCOPE_SYS
.LBB3_646:
	s_wait_xcnt 0x0
	s_or_b32 exec_lo, exec_lo, s10
	s_wait_loadcnt 0x0
	global_load_b64 v[2:3], v[0:1], off offset:16
	s_wait_loadcnt 0x0
	v_cmp_eq_u64_e32 vcc_lo, 0, v[2:3]
	s_cbranch_vccnz .LBB3_648
; %bb.647:
	global_load_b32 v0, v[0:1], off offset:24
	s_wait_xcnt 0x0
	v_mov_b32_e32 v1, 0
	s_wait_loadcnt 0x0
	v_readfirstlane_b32 s10, v0
	global_wb scope:SCOPE_SYS
	s_wait_storecnt 0x0
	global_store_b64 v[2:3], v[0:1], off scope:SCOPE_SYS
	s_and_b32 m0, s10, 0xffffff
	s_sendmsg sendmsg(MSG_INTERRUPT)
.LBB3_648:
	s_wait_xcnt 0x0
	s_or_b32 exec_lo, exec_lo, s3
	v_add_nc_u64_e32 v[0:1], v[12:13], v[4:5]
	s_branch .LBB3_652
.LBB3_649:                              ;   in Loop: Header=BB3_652 Depth=1
	s_wait_xcnt 0x0
	s_or_b32 exec_lo, exec_lo, s3
	s_delay_alu instid0(VALU_DEP_1)
	v_readfirstlane_b32 s3, v2
	s_cmp_eq_u32 s3, 0
	s_cbranch_scc1 .LBB3_651
; %bb.650:                              ;   in Loop: Header=BB3_652 Depth=1
	s_sleep 1
	s_cbranch_execnz .LBB3_652
	s_branch .LBB3_654
.LBB3_651:
	s_branch .LBB3_654
.LBB3_652:                              ; =>This Inner Loop Header: Depth=1
	v_mov_b32_e32 v2, 1
	s_and_saveexec_b32 s3, s2
	s_cbranch_execz .LBB3_649
; %bb.653:                              ;   in Loop: Header=BB3_652 Depth=1
	global_load_b32 v2, v[6:7], off offset:20 scope:SCOPE_SYS
	s_wait_loadcnt 0x0
	global_inv scope:SCOPE_SYS
	v_and_b32_e32 v2, 1, v2
	s_branch .LBB3_649
.LBB3_654:
	global_load_b64 v[0:1], v[0:1], off
	s_wait_xcnt 0x0
	s_and_saveexec_b32 s10, s2
	s_cbranch_execz .LBB3_658
; %bb.655:
	v_mov_b32_e32 v5, 0
	s_clause 0x2
	global_load_b64 v[2:3], v5, s[4:5] offset:40
	global_load_b64 v[14:15], v5, s[4:5] offset:24 scope:SCOPE_SYS
	global_load_b64 v[6:7], v5, s[4:5]
	s_wait_loadcnt 0x2
	v_readfirstlane_b32 s12, v2
	v_readfirstlane_b32 s13, v3
	s_add_nc_u64 s[2:3], s[12:13], 1
	s_delay_alu instid0(SALU_CYCLE_1) | instskip(NEXT) | instid1(SALU_CYCLE_1)
	s_add_nc_u64 s[6:7], s[2:3], s[6:7]
	s_cmp_eq_u64 s[6:7], 0
	s_cselect_b32 s3, s3, s7
	s_cselect_b32 s2, s2, s6
	v_mov_b32_e32 v13, s3
	s_and_b64 s[6:7], s[2:3], s[12:13]
	v_mov_b32_e32 v12, s2
	s_mul_u64 s[6:7], s[6:7], 24
	s_wait_loadcnt 0x0
	v_add_nc_u64_e32 v[2:3], s[6:7], v[6:7]
	global_store_b64 v[2:3], v[14:15], off
	global_wb scope:SCOPE_SYS
	s_wait_storecnt 0x0
	s_wait_xcnt 0x0
	global_atomic_cmpswap_b64 v[12:13], v5, v[12:15], s[4:5] offset:24 th:TH_ATOMIC_RETURN scope:SCOPE_SYS
	s_wait_loadcnt 0x0
	v_cmp_ne_u64_e32 vcc_lo, v[12:13], v[14:15]
	s_and_b32 exec_lo, exec_lo, vcc_lo
	s_cbranch_execz .LBB3_658
; %bb.656:
	s_mov_b32 s6, 0
.LBB3_657:                              ; =>This Inner Loop Header: Depth=1
	v_dual_mov_b32 v10, s2 :: v_dual_mov_b32 v11, s3
	s_sleep 1
	global_store_b64 v[2:3], v[12:13], off
	global_wb scope:SCOPE_SYS
	s_wait_storecnt 0x0
	s_wait_xcnt 0x0
	global_atomic_cmpswap_b64 v[6:7], v5, v[10:13], s[4:5] offset:24 th:TH_ATOMIC_RETURN scope:SCOPE_SYS
	s_wait_loadcnt 0x0
	v_cmp_eq_u64_e32 vcc_lo, v[6:7], v[12:13]
	v_mov_b64_e32 v[12:13], v[6:7]
	s_or_b32 s6, vcc_lo, s6
	s_delay_alu instid0(SALU_CYCLE_1)
	s_and_not1_b32 exec_lo, exec_lo, s6
	s_cbranch_execnz .LBB3_657
.LBB3_658:
	s_or_b32 exec_lo, exec_lo, s10
	v_readfirstlane_b32 s2, v37
	v_mov_b64_e32 v[2:3], 0
	s_delay_alu instid0(VALU_DEP_2)
	v_cmp_eq_u32_e64 s2, s2, v37
	s_and_saveexec_b32 s3, s2
	s_cbranch_execz .LBB3_664
; %bb.659:
	v_mov_b32_e32 v5, 0
	s_mov_b32 s6, exec_lo
	global_load_b64 v[12:13], v5, s[4:5] offset:24 scope:SCOPE_SYS
	s_wait_loadcnt 0x0
	global_inv scope:SCOPE_SYS
	s_clause 0x1
	global_load_b64 v[2:3], v5, s[4:5] offset:40
	global_load_b64 v[6:7], v5, s[4:5]
	s_wait_loadcnt 0x1
	v_and_b32_e32 v2, v2, v12
	v_and_b32_e32 v3, v3, v13
	s_delay_alu instid0(VALU_DEP_1) | instskip(SKIP_1) | instid1(VALU_DEP_1)
	v_mul_u64_e32 v[2:3], 24, v[2:3]
	s_wait_loadcnt 0x0
	v_add_nc_u64_e32 v[2:3], v[6:7], v[2:3]
	global_load_b64 v[10:11], v[2:3], off scope:SCOPE_SYS
	s_wait_xcnt 0x0
	s_wait_loadcnt 0x0
	global_atomic_cmpswap_b64 v[2:3], v5, v[10:13], s[4:5] offset:24 th:TH_ATOMIC_RETURN scope:SCOPE_SYS
	s_wait_loadcnt 0x0
	global_inv scope:SCOPE_SYS
	s_wait_xcnt 0x0
	v_cmpx_ne_u64_e64 v[2:3], v[12:13]
	s_cbranch_execz .LBB3_663
; %bb.660:
	s_mov_b32 s7, 0
.LBB3_661:                              ; =>This Inner Loop Header: Depth=1
	s_sleep 1
	s_clause 0x1
	global_load_b64 v[6:7], v5, s[4:5] offset:40
	global_load_b64 v[10:11], v5, s[4:5]
	v_mov_b64_e32 v[12:13], v[2:3]
	s_wait_loadcnt 0x1
	s_delay_alu instid0(VALU_DEP_1) | instskip(NEXT) | instid1(VALU_DEP_2)
	v_and_b32_e32 v2, v6, v12
	v_and_b32_e32 v6, v7, v13
	s_wait_loadcnt 0x0
	s_delay_alu instid0(VALU_DEP_2) | instskip(NEXT) | instid1(VALU_DEP_1)
	v_mad_nc_u64_u32 v[2:3], v2, 24, v[10:11]
	v_mad_u32 v3, v6, 24, v3
	global_load_b64 v[10:11], v[2:3], off scope:SCOPE_SYS
	s_wait_xcnt 0x0
	s_wait_loadcnt 0x0
	global_atomic_cmpswap_b64 v[2:3], v5, v[10:13], s[4:5] offset:24 th:TH_ATOMIC_RETURN scope:SCOPE_SYS
	s_wait_loadcnt 0x0
	global_inv scope:SCOPE_SYS
	v_cmp_eq_u64_e32 vcc_lo, v[2:3], v[12:13]
	s_or_b32 s7, vcc_lo, s7
	s_wait_xcnt 0x0
	s_and_not1_b32 exec_lo, exec_lo, s7
	s_cbranch_execnz .LBB3_661
; %bb.662:
	s_or_b32 exec_lo, exec_lo, s7
.LBB3_663:
	s_delay_alu instid0(SALU_CYCLE_1)
	s_or_b32 exec_lo, exec_lo, s6
.LBB3_664:
	s_delay_alu instid0(SALU_CYCLE_1)
	s_or_b32 exec_lo, exec_lo, s3
	v_readfirstlane_b32 s6, v2
	v_mov_b32_e32 v15, 0
	v_readfirstlane_b32 s7, v3
	s_mov_b32 s3, exec_lo
	s_clause 0x1
	global_load_b64 v[6:7], v15, s[4:5] offset:40
	global_load_b128 v[10:13], v15, s[4:5]
	s_wait_loadcnt 0x1
	v_and_b32_e32 v2, s6, v6
	v_and_b32_e32 v3, s7, v7
	s_delay_alu instid0(VALU_DEP_1) | instskip(SKIP_1) | instid1(VALU_DEP_1)
	v_mul_u64_e32 v[6:7], 24, v[2:3]
	s_wait_loadcnt 0x0
	v_add_nc_u64_e32 v[6:7], v[10:11], v[6:7]
	s_wait_xcnt 0x0
	s_and_saveexec_b32 s10, s2
	s_cbranch_execz .LBB3_666
; %bb.665:
	v_mov_b64_e32 v[16:17], 0x100000002
	v_mov_b32_e32 v14, s3
	global_store_b128 v[6:7], v[14:17], off offset:8
.LBB3_666:
	s_wait_xcnt 0x0
	s_or_b32 exec_lo, exec_lo, s10
	v_lshlrev_b64_e32 v[2:3], 12, v[2:3]
	v_and_or_b32 v0, 0xffffff1d, v0, 34
	s_delay_alu instid0(VALU_DEP_2) | instskip(SKIP_2) | instid1(SALU_CYCLE_1)
	v_add_nc_u64_e32 v[12:13], v[12:13], v[2:3]
	v_dual_mov_b32 v2, s8 :: v_dual_mov_b32 v3, s9
	s_mov_b32 s8, 0
	s_mov_b32 s10, s8
	;; [unrolled: 1-line block ×4, first 2 shown]
	s_delay_alu instid0(VALU_DEP_2)
	v_readfirstlane_b32 s12, v12
	v_readfirstlane_b32 s13, v13
	v_mov_b64_e32 v[14:15], s[10:11]
	v_mov_b64_e32 v[12:13], s[8:9]
	s_clause 0x3
	global_store_b128 v4, v[0:3], s[12:13]
	global_store_b128 v4, v[12:15], s[12:13] offset:16
	global_store_b128 v4, v[12:15], s[12:13] offset:32
	;; [unrolled: 1-line block ×3, first 2 shown]
	s_wait_xcnt 0x0
	s_and_saveexec_b32 s3, s2
	s_cbranch_execz .LBB3_674
; %bb.667:
	v_mov_b32_e32 v9, 0
	s_mov_b32 s8, exec_lo
	s_clause 0x1
	global_load_b64 v[12:13], v9, s[4:5] offset:32 scope:SCOPE_SYS
	global_load_b64 v[0:1], v9, s[4:5] offset:40
	s_wait_loadcnt 0x0
	v_and_b32_e32 v0, s6, v0
	v_and_b32_e32 v1, s7, v1
	s_delay_alu instid0(VALU_DEP_1) | instskip(NEXT) | instid1(VALU_DEP_1)
	v_mul_u64_e32 v[0:1], 24, v[0:1]
	v_add_nc_u64_e32 v[4:5], v[10:11], v[0:1]
	v_dual_mov_b32 v10, s6 :: v_dual_mov_b32 v11, s7
	global_store_b64 v[4:5], v[12:13], off
	global_wb scope:SCOPE_SYS
	s_wait_storecnt 0x0
	s_wait_xcnt 0x0
	global_atomic_cmpswap_b64 v[2:3], v9, v[10:13], s[4:5] offset:32 th:TH_ATOMIC_RETURN scope:SCOPE_SYS
	s_wait_loadcnt 0x0
	v_cmpx_ne_u64_e64 v[2:3], v[12:13]
	s_cbranch_execz .LBB3_670
; %bb.668:
	s_mov_b32 s9, 0
.LBB3_669:                              ; =>This Inner Loop Header: Depth=1
	v_dual_mov_b32 v0, s6 :: v_dual_mov_b32 v1, s7
	s_sleep 1
	global_store_b64 v[4:5], v[2:3], off
	global_wb scope:SCOPE_SYS
	s_wait_storecnt 0x0
	s_wait_xcnt 0x0
	global_atomic_cmpswap_b64 v[0:1], v9, v[0:3], s[4:5] offset:32 th:TH_ATOMIC_RETURN scope:SCOPE_SYS
	s_wait_loadcnt 0x0
	v_cmp_eq_u64_e32 vcc_lo, v[0:1], v[2:3]
	v_mov_b64_e32 v[2:3], v[0:1]
	s_or_b32 s9, vcc_lo, s9
	s_delay_alu instid0(SALU_CYCLE_1)
	s_and_not1_b32 exec_lo, exec_lo, s9
	s_cbranch_execnz .LBB3_669
.LBB3_670:
	s_or_b32 exec_lo, exec_lo, s8
	v_mov_b32_e32 v3, 0
	s_mov_b32 s9, exec_lo
	s_mov_b32 s8, exec_lo
	v_mbcnt_lo_u32_b32 v2, s9, 0
	global_load_b64 v[0:1], v3, s[4:5] offset:16
	s_wait_xcnt 0x0
	v_cmpx_eq_u32_e32 0, v2
	s_cbranch_execz .LBB3_672
; %bb.671:
	s_bcnt1_i32_b32 s9, s9
	s_delay_alu instid0(SALU_CYCLE_1)
	v_mov_b32_e32 v2, s9
	global_wb scope:SCOPE_SYS
	s_wait_loadcnt 0x0
	s_wait_storecnt 0x0
	global_atomic_add_u64 v[0:1], v[2:3], off offset:8 scope:SCOPE_SYS
.LBB3_672:
	s_wait_xcnt 0x0
	s_or_b32 exec_lo, exec_lo, s8
	s_wait_loadcnt 0x0
	global_load_b64 v[2:3], v[0:1], off offset:16
	s_wait_loadcnt 0x0
	v_cmp_eq_u64_e32 vcc_lo, 0, v[2:3]
	s_cbranch_vccnz .LBB3_674
; %bb.673:
	global_load_b32 v0, v[0:1], off offset:24
	s_wait_xcnt 0x0
	v_mov_b32_e32 v1, 0
	s_wait_loadcnt 0x0
	v_readfirstlane_b32 s8, v0
	global_wb scope:SCOPE_SYS
	s_wait_storecnt 0x0
	global_store_b64 v[2:3], v[0:1], off scope:SCOPE_SYS
	s_and_b32 m0, s8, 0xffffff
	s_sendmsg sendmsg(MSG_INTERRUPT)
.LBB3_674:
	s_wait_xcnt 0x0
	s_or_b32 exec_lo, exec_lo, s3
	s_branch .LBB3_678
.LBB3_675:                              ;   in Loop: Header=BB3_678 Depth=1
	s_wait_xcnt 0x0
	s_or_b32 exec_lo, exec_lo, s3
	s_delay_alu instid0(VALU_DEP_1)
	v_readfirstlane_b32 s3, v0
	s_cmp_eq_u32 s3, 0
	s_cbranch_scc1 .LBB3_677
; %bb.676:                              ;   in Loop: Header=BB3_678 Depth=1
	s_sleep 1
	s_cbranch_execnz .LBB3_678
	s_branch .LBB3_680
.LBB3_677:
	s_branch .LBB3_680
.LBB3_678:                              ; =>This Inner Loop Header: Depth=1
	v_mov_b32_e32 v0, 1
	s_and_saveexec_b32 s3, s2
	s_cbranch_execz .LBB3_675
; %bb.679:                              ;   in Loop: Header=BB3_678 Depth=1
	global_load_b32 v0, v[6:7], off offset:20 scope:SCOPE_SYS
	s_wait_loadcnt 0x0
	global_inv scope:SCOPE_SYS
	v_and_b32_e32 v0, 1, v0
	s_branch .LBB3_675
.LBB3_680:
	s_and_saveexec_b32 s8, s2
	s_cbranch_execz .LBB3_684
; %bb.681:
	v_mov_b32_e32 v6, 0
	s_clause 0x2
	global_load_b64 v[0:1], v6, s[4:5] offset:40
	global_load_b64 v[12:13], v6, s[4:5] offset:24 scope:SCOPE_SYS
	global_load_b64 v[2:3], v6, s[4:5]
	s_wait_loadcnt 0x2
	v_readfirstlane_b32 s10, v0
	v_readfirstlane_b32 s11, v1
	s_add_nc_u64 s[2:3], s[10:11], 1
	s_delay_alu instid0(SALU_CYCLE_1) | instskip(NEXT) | instid1(SALU_CYCLE_1)
	s_add_nc_u64 s[6:7], s[2:3], s[6:7]
	s_cmp_eq_u64 s[6:7], 0
	s_cselect_b32 s3, s3, s7
	s_cselect_b32 s2, s2, s6
	v_mov_b32_e32 v11, s3
	s_and_b64 s[6:7], s[2:3], s[10:11]
	v_mov_b32_e32 v10, s2
	s_mul_u64 s[6:7], s[6:7], 24
	s_wait_loadcnt 0x0
	v_add_nc_u64_e32 v[4:5], s[6:7], v[2:3]
	global_store_b64 v[4:5], v[12:13], off
	global_wb scope:SCOPE_SYS
	s_wait_storecnt 0x0
	s_wait_xcnt 0x0
	global_atomic_cmpswap_b64 v[2:3], v6, v[10:13], s[4:5] offset:24 th:TH_ATOMIC_RETURN scope:SCOPE_SYS
	s_wait_loadcnt 0x0
	v_cmp_ne_u64_e32 vcc_lo, v[2:3], v[12:13]
	s_and_b32 exec_lo, exec_lo, vcc_lo
	s_cbranch_execz .LBB3_684
; %bb.682:
	s_mov_b32 s6, 0
.LBB3_683:                              ; =>This Inner Loop Header: Depth=1
	v_dual_mov_b32 v0, s2 :: v_dual_mov_b32 v1, s3
	s_sleep 1
	global_store_b64 v[4:5], v[2:3], off
	global_wb scope:SCOPE_SYS
	s_wait_storecnt 0x0
	s_wait_xcnt 0x0
	global_atomic_cmpswap_b64 v[0:1], v6, v[0:3], s[4:5] offset:24 th:TH_ATOMIC_RETURN scope:SCOPE_SYS
	s_wait_loadcnt 0x0
	v_cmp_eq_u64_e32 vcc_lo, v[0:1], v[2:3]
	v_mov_b64_e32 v[2:3], v[0:1]
	s_or_b32 s6, vcc_lo, s6
	s_delay_alu instid0(SALU_CYCLE_1)
	s_and_not1_b32 exec_lo, exec_lo, s6
	s_cbranch_execnz .LBB3_683
.LBB3_684:
	s_or_b32 exec_lo, exec_lo, s8
	s_cvt_f32_u32 s2, s26
	s_sub_co_i32 s3, 0, s26
	s_load_b64 s[0:1], s[0:1], 0x8
	s_delay_alu instid0(SALU_CYCLE_1) | instskip(SKIP_1) | instid1(TRANS32_DEP_1)
	v_rcp_iflag_f32_e32 v0, s2
	v_nop
	v_readfirstlane_b32 s2, v0
	s_mul_f32 s2, s2, 0x4f7ffffe
	s_delay_alu instid0(SALU_CYCLE_3) | instskip(NEXT) | instid1(SALU_CYCLE_3)
	s_cvt_u32_f32 s2, s2
	s_mul_i32 s3, s3, s2
	s_delay_alu instid0(SALU_CYCLE_1) | instskip(NEXT) | instid1(SALU_CYCLE_1)
	s_mul_hi_u32 s3, s2, s3
	s_add_co_i32 s2, s2, s3
	s_delay_alu instid0(SALU_CYCLE_1) | instskip(NEXT) | instid1(VALU_DEP_1)
	v_mul_hi_u32 v0, v36, s2
	v_mul_lo_u32 v1, v0, s26
	s_delay_alu instid0(VALU_DEP_1) | instskip(NEXT) | instid1(VALU_DEP_1)
	v_dual_add_nc_u32 v2, 1, v0 :: v_dual_sub_nc_u32 v1, v36, v1
	v_subrev_nc_u32_e32 v3, s26, v1
	v_cmp_le_u32_e32 vcc_lo, s26, v1
	s_delay_alu instid0(VALU_DEP_2) | instskip(NEXT) | instid1(VALU_DEP_1)
	v_dual_cndmask_b32 v0, v0, v2 :: v_dual_cndmask_b32 v1, v1, v3
	v_add_nc_u32_e32 v2, 1, v0
	s_delay_alu instid0(VALU_DEP_2) | instskip(NEXT) | instid1(VALU_DEP_2)
	v_cmp_le_u32_e32 vcc_lo, s26, v1
	v_cndmask_b32_e32 v0, v0, v2, vcc_lo
	s_wait_kmcnt 0x0
	global_store_b32 v0, v8, s[0:1] scale_offset
.LBB3_685:
	s_endpgm
	.section	.rodata,"a",@progbits
	.p2align	6, 0x0
	.amdhsa_kernel _Z35kernel_cg_coalesced_group_partitionjPibS_i
		.amdhsa_group_segment_fixed_size 0
		.amdhsa_private_segment_fixed_size 0
		.amdhsa_kernarg_size 296
		.amdhsa_user_sgpr_count 2
		.amdhsa_user_sgpr_dispatch_ptr 0
		.amdhsa_user_sgpr_queue_ptr 0
		.amdhsa_user_sgpr_kernarg_segment_ptr 1
		.amdhsa_user_sgpr_dispatch_id 0
		.amdhsa_user_sgpr_kernarg_preload_length 0
		.amdhsa_user_sgpr_kernarg_preload_offset 0
		.amdhsa_user_sgpr_private_segment_size 0
		.amdhsa_wavefront_size32 1
		.amdhsa_uses_dynamic_stack 0
		.amdhsa_enable_private_segment 0
		.amdhsa_system_sgpr_workgroup_id_x 1
		.amdhsa_system_sgpr_workgroup_id_y 0
		.amdhsa_system_sgpr_workgroup_id_z 0
		.amdhsa_system_sgpr_workgroup_info 0
		.amdhsa_system_vgpr_workitem_id 0
		.amdhsa_next_free_vgpr 40
		.amdhsa_next_free_sgpr 30
		.amdhsa_named_barrier_count 0
		.amdhsa_reserve_vcc 1
		.amdhsa_float_round_mode_32 0
		.amdhsa_float_round_mode_16_64 0
		.amdhsa_float_denorm_mode_32 3
		.amdhsa_float_denorm_mode_16_64 3
		.amdhsa_fp16_overflow 0
		.amdhsa_memory_ordered 1
		.amdhsa_forward_progress 1
		.amdhsa_inst_pref_size 239
		.amdhsa_round_robin_scheduling 0
		.amdhsa_exception_fp_ieee_invalid_op 0
		.amdhsa_exception_fp_denorm_src 0
		.amdhsa_exception_fp_ieee_div_zero 0
		.amdhsa_exception_fp_ieee_overflow 0
		.amdhsa_exception_fp_ieee_underflow 0
		.amdhsa_exception_fp_ieee_inexact 0
		.amdhsa_exception_int_div_zero 0
	.end_amdhsa_kernel
	.text
.Lfunc_end3:
	.size	_Z35kernel_cg_coalesced_group_partitionjPibS_i, .Lfunc_end3-_Z35kernel_cg_coalesced_group_partitionjPibS_i
                                        ; -- End function
	.set _Z35kernel_cg_coalesced_group_partitionjPibS_i.num_vgpr, 40
	.set _Z35kernel_cg_coalesced_group_partitionjPibS_i.num_agpr, 0
	.set _Z35kernel_cg_coalesced_group_partitionjPibS_i.numbered_sgpr, 30
	.set _Z35kernel_cg_coalesced_group_partitionjPibS_i.num_named_barrier, 0
	.set _Z35kernel_cg_coalesced_group_partitionjPibS_i.private_seg_size, 0
	.set _Z35kernel_cg_coalesced_group_partitionjPibS_i.uses_vcc, 1
	.set _Z35kernel_cg_coalesced_group_partitionjPibS_i.uses_flat_scratch, 0
	.set _Z35kernel_cg_coalesced_group_partitionjPibS_i.has_dyn_sized_stack, 0
	.set _Z35kernel_cg_coalesced_group_partitionjPibS_i.has_recursion, 0
	.set _Z35kernel_cg_coalesced_group_partitionjPibS_i.has_indirect_call, 0
	.section	.AMDGPU.csdata,"",@progbits
; Kernel info:
; codeLenInByte = 30496
; TotalNumSgprs: 32
; NumVgprs: 40
; ScratchSize: 0
; MemoryBound: 0
; FloatMode: 240
; IeeeMode: 1
; LDSByteSize: 0 bytes/workgroup (compile time only)
; SGPRBlocks: 0
; VGPRBlocks: 2
; NumSGPRsForWavesPerEU: 32
; NumVGPRsForWavesPerEU: 40
; NamedBarCnt: 0
; Occupancy: 16
; WaveLimiterHint : 1
; COMPUTE_PGM_RSRC2:SCRATCH_EN: 0
; COMPUTE_PGM_RSRC2:USER_SGPR: 2
; COMPUTE_PGM_RSRC2:TRAP_HANDLER: 0
; COMPUTE_PGM_RSRC2:TGID_X_EN: 1
; COMPUTE_PGM_RSRC2:TGID_Y_EN: 0
; COMPUTE_PGM_RSRC2:TGID_Z_EN: 0
; COMPUTE_PGM_RSRC2:TIDIG_COMP_CNT: 0
	.text
	.protected	_Z30kernel_coalesced_active_groupsv ; -- Begin function _Z30kernel_coalesced_active_groupsv
	.globl	_Z30kernel_coalesced_active_groupsv
	.p2align	8
	.type	_Z30kernel_coalesced_active_groupsv,@function
_Z30kernel_coalesced_active_groupsv:    ; @_Z30kernel_coalesced_active_groupsv
; %bb.0:
	v_bfe_u32 v1, v0, 10, 10
	v_bfe_u32 v2, v0, 20, 10
	s_lshr_b32 s2, s5, 16
	v_and_b32_e32 v0, 0x3ff, v0
	s_mov_b32 s16, exec_lo
	s_delay_alu instid0(VALU_DEP_2)
	v_mad_u32_u24 v1, v2, s2, v1
	s_and_b32 s2, s5, 0xffff
	s_delay_alu instid0(VALU_DEP_1) | instid1(SALU_CYCLE_1)
	v_mad_u32 v2, v1, s2, v0
	s_delay_alu instid0(VALU_DEP_1)
	v_cmpx_eq_u32_e32 0, v2
	s_cbranch_execz .LBB4_133
; %bb.1:
	s_load_b64 s[4:5], s[0:1], 0x50
	v_mbcnt_lo_u32_b32 v3, -1, 0
	v_mov_b64_e32 v[0:1], 0
	s_delay_alu instid0(VALU_DEP_2) | instskip(NEXT) | instid1(VALU_DEP_1)
	v_readfirstlane_b32 s2, v3
	v_cmp_eq_u32_e64 s2, s2, v3
	s_and_saveexec_b32 s3, s2
	s_cbranch_execz .LBB4_7
; %bb.2:
	v_mov_b32_e32 v4, 0
	s_mov_b32 s6, exec_lo
	s_wait_kmcnt 0x0
	global_load_b64 v[8:9], v4, s[4:5] offset:24 scope:SCOPE_SYS
	s_wait_loadcnt 0x0
	global_inv scope:SCOPE_SYS
	s_clause 0x1
	global_load_b64 v[0:1], v4, s[4:5] offset:40
	global_load_b64 v[6:7], v4, s[4:5]
	s_wait_loadcnt 0x1
	v_and_b32_e32 v0, v0, v8
	v_and_b32_e32 v1, v1, v9
	s_delay_alu instid0(VALU_DEP_1) | instskip(SKIP_1) | instid1(VALU_DEP_1)
	v_mul_u64_e32 v[0:1], 24, v[0:1]
	s_wait_loadcnt 0x0
	v_add_nc_u64_e32 v[0:1], v[6:7], v[0:1]
	global_load_b64 v[6:7], v[0:1], off scope:SCOPE_SYS
	s_wait_xcnt 0x0
	s_wait_loadcnt 0x0
	global_atomic_cmpswap_b64 v[0:1], v4, v[6:9], s[4:5] offset:24 th:TH_ATOMIC_RETURN scope:SCOPE_SYS
	s_wait_loadcnt 0x0
	global_inv scope:SCOPE_SYS
	s_wait_xcnt 0x0
	v_cmpx_ne_u64_e64 v[0:1], v[8:9]
	s_cbranch_execz .LBB4_6
; %bb.3:
	s_mov_b32 s7, 0
.LBB4_4:                                ; =>This Inner Loop Header: Depth=1
	s_sleep 1
	s_clause 0x1
	global_load_b64 v[6:7], v4, s[4:5] offset:40
	global_load_b64 v[10:11], v4, s[4:5]
	v_mov_b64_e32 v[8:9], v[0:1]
	s_wait_loadcnt 0x1
	s_delay_alu instid0(VALU_DEP_1) | instskip(NEXT) | instid1(VALU_DEP_2)
	v_and_b32_e32 v0, v6, v8
	v_and_b32_e32 v5, v7, v9
	s_wait_loadcnt 0x0
	s_delay_alu instid0(VALU_DEP_2) | instskip(NEXT) | instid1(VALU_DEP_1)
	v_mad_nc_u64_u32 v[0:1], v0, 24, v[10:11]
	v_mad_u32 v1, v5, 24, v1
	global_load_b64 v[6:7], v[0:1], off scope:SCOPE_SYS
	s_wait_xcnt 0x0
	s_wait_loadcnt 0x0
	global_atomic_cmpswap_b64 v[0:1], v4, v[6:9], s[4:5] offset:24 th:TH_ATOMIC_RETURN scope:SCOPE_SYS
	s_wait_loadcnt 0x0
	global_inv scope:SCOPE_SYS
	v_cmp_eq_u64_e32 vcc_lo, v[0:1], v[8:9]
	s_or_b32 s7, vcc_lo, s7
	s_wait_xcnt 0x0
	s_and_not1_b32 exec_lo, exec_lo, s7
	s_cbranch_execnz .LBB4_4
; %bb.5:
	s_or_b32 exec_lo, exec_lo, s7
.LBB4_6:
	s_delay_alu instid0(SALU_CYCLE_1)
	s_or_b32 exec_lo, exec_lo, s6
.LBB4_7:
	s_delay_alu instid0(SALU_CYCLE_1)
	s_or_b32 exec_lo, exec_lo, s3
	v_readfirstlane_b32 s6, v0
	v_mov_b32_e32 v5, 0
	v_readfirstlane_b32 s7, v1
	s_mov_b32 s3, exec_lo
	s_wait_kmcnt 0x0
	s_clause 0x1
	global_load_b64 v[6:7], v5, s[4:5] offset:40
	global_load_b128 v[8:11], v5, s[4:5]
	s_wait_loadcnt 0x1
	v_and_b32_e32 v12, s6, v6
	v_and_b32_e32 v13, s7, v7
	s_delay_alu instid0(VALU_DEP_1) | instskip(SKIP_1) | instid1(VALU_DEP_1)
	v_mul_u64_e32 v[0:1], 24, v[12:13]
	s_wait_loadcnt 0x0
	v_add_nc_u64_e32 v[0:1], v[8:9], v[0:1]
	s_and_saveexec_b32 s8, s2
	s_cbranch_execz .LBB4_9
; %bb.8:
	v_mov_b64_e32 v[6:7], 0x100000002
	v_mov_b32_e32 v4, s3
	global_store_b128 v[0:1], v[4:7], off offset:8
.LBB4_9:
	s_wait_xcnt 0x0
	s_or_b32 exec_lo, exec_lo, s8
	v_lshlrev_b64_e32 v[6:7], 12, v[12:13]
	s_mov_b32 s8, 0
	v_dual_lshlrev_b32 v4, 6, v3 :: v_dual_mov_b32 v12, 33
	s_mov_b32 s10, s8
	s_mov_b32 s11, s8
	;; [unrolled: 1-line block ×3, first 2 shown]
	s_delay_alu instid0(VALU_DEP_2)
	v_add_nc_u64_e32 v[10:11], v[10:11], v[6:7]
	v_mov_b64_e32 v[18:19], s[10:11]
	v_mov_b64_e32 v[16:17], s[8:9]
	v_dual_mov_b32 v13, v5 :: v_dual_mov_b32 v14, v5
	v_mov_b32_e32 v15, v5
	v_readfirstlane_b32 s12, v10
	v_readfirstlane_b32 s13, v11
	s_clause 0x3
	global_store_b128 v4, v[12:15], s[12:13]
	global_store_b128 v4, v[16:19], s[12:13] offset:16
	global_store_b128 v4, v[16:19], s[12:13] offset:32
	;; [unrolled: 1-line block ×3, first 2 shown]
	s_wait_xcnt 0x0
	s_and_saveexec_b32 s3, s2
	s_cbranch_execz .LBB4_17
; %bb.10:
	v_dual_mov_b32 v14, 0 :: v_dual_mov_b32 v17, s7
	s_mov_b32 s8, exec_lo
	s_clause 0x1
	global_load_b64 v[18:19], v14, s[4:5] offset:32 scope:SCOPE_SYS
	global_load_b64 v[6:7], v14, s[4:5] offset:40
	s_wait_loadcnt 0x0
	v_dual_mov_b32 v16, s6 :: v_dual_bitop2_b32 v7, s7, v7 bitop3:0x40
	v_and_b32_e32 v6, s6, v6
	s_delay_alu instid0(VALU_DEP_1) | instskip(NEXT) | instid1(VALU_DEP_1)
	v_mul_u64_e32 v[6:7], 24, v[6:7]
	v_add_nc_u64_e32 v[12:13], v[8:9], v[6:7]
	global_store_b64 v[12:13], v[18:19], off
	global_wb scope:SCOPE_SYS
	s_wait_storecnt 0x0
	s_wait_xcnt 0x0
	global_atomic_cmpswap_b64 v[8:9], v14, v[16:19], s[4:5] offset:32 th:TH_ATOMIC_RETURN scope:SCOPE_SYS
	s_wait_loadcnt 0x0
	v_cmpx_ne_u64_e64 v[8:9], v[18:19]
	s_cbranch_execz .LBB4_13
; %bb.11:
	s_mov_b32 s9, 0
.LBB4_12:                               ; =>This Inner Loop Header: Depth=1
	v_dual_mov_b32 v6, s6 :: v_dual_mov_b32 v7, s7
	s_sleep 1
	global_store_b64 v[12:13], v[8:9], off
	global_wb scope:SCOPE_SYS
	s_wait_storecnt 0x0
	s_wait_xcnt 0x0
	global_atomic_cmpswap_b64 v[6:7], v14, v[6:9], s[4:5] offset:32 th:TH_ATOMIC_RETURN scope:SCOPE_SYS
	s_wait_loadcnt 0x0
	v_cmp_eq_u64_e32 vcc_lo, v[6:7], v[8:9]
	v_mov_b64_e32 v[8:9], v[6:7]
	s_or_b32 s9, vcc_lo, s9
	s_delay_alu instid0(SALU_CYCLE_1)
	s_and_not1_b32 exec_lo, exec_lo, s9
	s_cbranch_execnz .LBB4_12
.LBB4_13:
	s_or_b32 exec_lo, exec_lo, s8
	v_mov_b32_e32 v9, 0
	s_mov_b32 s9, exec_lo
	s_mov_b32 s8, exec_lo
	v_mbcnt_lo_u32_b32 v8, s9, 0
	global_load_b64 v[6:7], v9, s[4:5] offset:16
	s_wait_xcnt 0x0
	v_cmpx_eq_u32_e32 0, v8
	s_cbranch_execz .LBB4_15
; %bb.14:
	s_bcnt1_i32_b32 s9, s9
	s_delay_alu instid0(SALU_CYCLE_1)
	v_mov_b32_e32 v8, s9
	global_wb scope:SCOPE_SYS
	s_wait_loadcnt 0x0
	s_wait_storecnt 0x0
	global_atomic_add_u64 v[6:7], v[8:9], off offset:8 scope:SCOPE_SYS
.LBB4_15:
	s_wait_xcnt 0x0
	s_or_b32 exec_lo, exec_lo, s8
	s_wait_loadcnt 0x0
	global_load_b64 v[8:9], v[6:7], off offset:16
	s_wait_loadcnt 0x0
	v_cmp_eq_u64_e32 vcc_lo, 0, v[8:9]
	s_cbranch_vccnz .LBB4_17
; %bb.16:
	global_load_b32 v6, v[6:7], off offset:24
	s_wait_xcnt 0x0
	v_mov_b32_e32 v7, 0
	s_wait_loadcnt 0x0
	v_readfirstlane_b32 s8, v6
	global_wb scope:SCOPE_SYS
	s_wait_storecnt 0x0
	global_store_b64 v[8:9], v[6:7], off scope:SCOPE_SYS
	s_and_b32 m0, s8, 0xffffff
	s_sendmsg sendmsg(MSG_INTERRUPT)
.LBB4_17:
	s_wait_xcnt 0x0
	s_or_b32 exec_lo, exec_lo, s3
	v_add_nc_u64_e32 v[6:7], v[10:11], v[4:5]
	s_branch .LBB4_21
.LBB4_18:                               ;   in Loop: Header=BB4_21 Depth=1
	s_wait_xcnt 0x0
	s_or_b32 exec_lo, exec_lo, s3
	s_delay_alu instid0(VALU_DEP_1)
	v_readfirstlane_b32 s3, v5
	s_cmp_eq_u32 s3, 0
	s_cbranch_scc1 .LBB4_20
; %bb.19:                               ;   in Loop: Header=BB4_21 Depth=1
	s_sleep 1
	s_cbranch_execnz .LBB4_21
	s_branch .LBB4_23
.LBB4_20:
	s_branch .LBB4_23
.LBB4_21:                               ; =>This Inner Loop Header: Depth=1
	v_mov_b32_e32 v5, 1
	s_and_saveexec_b32 s3, s2
	s_cbranch_execz .LBB4_18
; %bb.22:                               ;   in Loop: Header=BB4_21 Depth=1
	global_load_b32 v5, v[0:1], off offset:20 scope:SCOPE_SYS
	s_wait_loadcnt 0x0
	global_inv scope:SCOPE_SYS
	v_and_b32_e32 v5, 1, v5
	s_branch .LBB4_18
.LBB4_23:
	global_load_b64 v[6:7], v[6:7], off
	s_wait_xcnt 0x0
	s_and_saveexec_b32 s8, s2
	s_cbranch_execz .LBB4_27
; %bb.24:
	v_mov_b32_e32 v5, 0
	s_clause 0x2
	global_load_b64 v[0:1], v5, s[4:5] offset:40
	global_load_b64 v[12:13], v5, s[4:5] offset:24 scope:SCOPE_SYS
	global_load_b64 v[8:9], v5, s[4:5]
	s_wait_loadcnt 0x2
	v_readfirstlane_b32 s10, v0
	v_readfirstlane_b32 s11, v1
	s_add_nc_u64 s[2:3], s[10:11], 1
	s_delay_alu instid0(SALU_CYCLE_1) | instskip(NEXT) | instid1(SALU_CYCLE_1)
	s_add_nc_u64 s[6:7], s[2:3], s[6:7]
	s_cmp_eq_u64 s[6:7], 0
	s_cselect_b32 s3, s3, s7
	s_cselect_b32 s2, s2, s6
	v_mov_b32_e32 v11, s3
	s_and_b64 s[6:7], s[2:3], s[10:11]
	v_mov_b32_e32 v10, s2
	s_mul_u64 s[6:7], s[6:7], 24
	s_wait_loadcnt 0x0
	v_add_nc_u64_e32 v[0:1], s[6:7], v[8:9]
	global_store_b64 v[0:1], v[12:13], off
	global_wb scope:SCOPE_SYS
	s_wait_storecnt 0x0
	s_wait_xcnt 0x0
	global_atomic_cmpswap_b64 v[10:11], v5, v[10:13], s[4:5] offset:24 th:TH_ATOMIC_RETURN scope:SCOPE_SYS
	s_wait_loadcnt 0x0
	v_cmp_ne_u64_e32 vcc_lo, v[10:11], v[12:13]
	s_and_b32 exec_lo, exec_lo, vcc_lo
	s_cbranch_execz .LBB4_27
; %bb.25:
	s_mov_b32 s6, 0
.LBB4_26:                               ; =>This Inner Loop Header: Depth=1
	v_dual_mov_b32 v8, s2 :: v_dual_mov_b32 v9, s3
	s_sleep 1
	global_store_b64 v[0:1], v[10:11], off
	global_wb scope:SCOPE_SYS
	s_wait_storecnt 0x0
	s_wait_xcnt 0x0
	global_atomic_cmpswap_b64 v[8:9], v5, v[8:11], s[4:5] offset:24 th:TH_ATOMIC_RETURN scope:SCOPE_SYS
	s_wait_loadcnt 0x0
	v_cmp_eq_u64_e32 vcc_lo, v[8:9], v[10:11]
	v_mov_b64_e32 v[10:11], v[8:9]
	s_or_b32 s6, vcc_lo, s6
	s_delay_alu instid0(SALU_CYCLE_1)
	s_and_not1_b32 exec_lo, exec_lo, s6
	s_cbranch_execnz .LBB4_26
.LBB4_27:
	s_or_b32 exec_lo, exec_lo, s8
	s_get_pc_i64 s[6:7]
	s_add_nc_u64 s[6:7], s[6:7], .str.3@rel64+4
	s_delay_alu instid0(SALU_CYCLE_1)
	s_cmp_lg_u64 s[6:7], 0
	s_cbranch_scc0 .LBB4_106
; %bb.28:
	v_mov_b64_e32 v[10:11], 0x100000002
	s_wait_loadcnt 0x0
	v_dual_mov_b32 v13, v7 :: v_dual_bitop2_b32 v12, -3, v6 bitop3:0x40
	v_mov_b32_e32 v9, 0
	s_mov_b64 s[8:9], 0x50
	s_branch .LBB4_30
.LBB4_29:                               ;   in Loop: Header=BB4_30 Depth=1
	s_or_b32 exec_lo, exec_lo, s14
	s_sub_nc_u64 s[8:9], s[8:9], s[10:11]
	s_add_nc_u64 s[6:7], s[6:7], s[10:11]
	s_cmp_lg_u64 s[8:9], 0
	s_cbranch_scc0 .LBB4_105
.LBB4_30:                               ; =>This Loop Header: Depth=1
                                        ;     Child Loop BB4_33 Depth 2
                                        ;     Child Loop BB4_40 Depth 2
	;; [unrolled: 1-line block ×11, first 2 shown]
	v_min_u64 v[0:1], s[8:9], 56
	v_cmp_gt_u64_e64 s2, s[8:9], 7
	s_and_b32 vcc_lo, exec_lo, s2
	v_readfirstlane_b32 s10, v0
	v_readfirstlane_b32 s11, v1
	s_cbranch_vccnz .LBB4_35
; %bb.31:                               ;   in Loop: Header=BB4_30 Depth=1
	s_wait_loadcnt 0x0
	v_mov_b64_e32 v[14:15], 0
	s_cmp_eq_u64 s[8:9], 0
	s_cbranch_scc1 .LBB4_34
; %bb.32:                               ;   in Loop: Header=BB4_30 Depth=1
	s_mov_b64 s[2:3], 0
	s_mov_b64 s[12:13], 0
.LBB4_33:                               ;   Parent Loop BB4_30 Depth=1
                                        ; =>  This Inner Loop Header: Depth=2
	s_wait_xcnt 0x0
	s_add_nc_u64 s[14:15], s[6:7], s[12:13]
	s_add_nc_u64 s[12:13], s[12:13], 1
	global_load_u8 v0, v9, s[14:15]
	s_cmp_lg_u32 s10, s12
	s_wait_loadcnt 0x0
	v_and_b32_e32 v8, 0xffff, v0
	s_delay_alu instid0(VALU_DEP_1) | instskip(SKIP_1) | instid1(VALU_DEP_1)
	v_lshlrev_b64_e32 v[0:1], s2, v[8:9]
	s_add_nc_u64 s[2:3], s[2:3], 8
	v_or_b32_e32 v14, v0, v14
	s_delay_alu instid0(VALU_DEP_2)
	v_or_b32_e32 v15, v1, v15
	s_cbranch_scc1 .LBB4_33
.LBB4_34:                               ;   in Loop: Header=BB4_30 Depth=1
	s_mov_b64 s[12:13], s[6:7]
	s_mov_b32 s17, 0
	s_cbranch_execz .LBB4_36
	s_branch .LBB4_37
.LBB4_35:                               ;   in Loop: Header=BB4_30 Depth=1
	s_add_nc_u64 s[12:13], s[6:7], 8
	s_mov_b32 s17, 0
.LBB4_36:                               ;   in Loop: Header=BB4_30 Depth=1
	s_wait_loadcnt 0x0
	global_load_b64 v[14:15], v9, s[6:7]
	s_add_co_i32 s17, s10, -8
.LBB4_37:                               ;   in Loop: Header=BB4_30 Depth=1
	s_delay_alu instid0(SALU_CYCLE_1)
	s_cmp_gt_u32 s17, 7
	s_cbranch_scc1 .LBB4_42
; %bb.38:                               ;   in Loop: Header=BB4_30 Depth=1
	v_mov_b64_e32 v[16:17], 0
	s_cmp_eq_u32 s17, 0
	s_cbranch_scc1 .LBB4_41
; %bb.39:                               ;   in Loop: Header=BB4_30 Depth=1
	s_mov_b64 s[2:3], 0
	s_wait_xcnt 0x0
	s_mov_b64 s[14:15], 0
.LBB4_40:                               ;   Parent Loop BB4_30 Depth=1
                                        ; =>  This Inner Loop Header: Depth=2
	s_wait_xcnt 0x0
	s_add_nc_u64 s[18:19], s[12:13], s[14:15]
	s_add_nc_u64 s[14:15], s[14:15], 1
	global_load_u8 v0, v9, s[18:19]
	s_cmp_lg_u32 s17, s14
	s_wait_loadcnt 0x0
	v_and_b32_e32 v8, 0xffff, v0
	s_delay_alu instid0(VALU_DEP_1) | instskip(SKIP_1) | instid1(VALU_DEP_1)
	v_lshlrev_b64_e32 v[0:1], s2, v[8:9]
	s_add_nc_u64 s[2:3], s[2:3], 8
	v_or_b32_e32 v16, v0, v16
	s_delay_alu instid0(VALU_DEP_2)
	v_or_b32_e32 v17, v1, v17
	s_cbranch_scc1 .LBB4_40
.LBB4_41:                               ;   in Loop: Header=BB4_30 Depth=1
	s_wait_xcnt 0x0
	s_mov_b64 s[2:3], s[12:13]
	s_mov_b32 s18, 0
	s_cbranch_execz .LBB4_43
	s_branch .LBB4_44
.LBB4_42:                               ;   in Loop: Header=BB4_30 Depth=1
	s_add_nc_u64 s[2:3], s[12:13], 8
	s_wait_xcnt 0x0
                                        ; implicit-def: $vgpr16_vgpr17
	s_mov_b32 s18, 0
.LBB4_43:                               ;   in Loop: Header=BB4_30 Depth=1
	global_load_b64 v[16:17], v9, s[12:13]
	s_add_co_i32 s18, s17, -8
.LBB4_44:                               ;   in Loop: Header=BB4_30 Depth=1
	s_delay_alu instid0(SALU_CYCLE_1)
	s_cmp_gt_u32 s18, 7
	s_cbranch_scc1 .LBB4_49
; %bb.45:                               ;   in Loop: Header=BB4_30 Depth=1
	v_mov_b64_e32 v[18:19], 0
	s_cmp_eq_u32 s18, 0
	s_cbranch_scc1 .LBB4_48
; %bb.46:                               ;   in Loop: Header=BB4_30 Depth=1
	s_wait_xcnt 0x0
	s_mov_b64 s[12:13], 0
	s_mov_b64 s[14:15], 0
.LBB4_47:                               ;   Parent Loop BB4_30 Depth=1
                                        ; =>  This Inner Loop Header: Depth=2
	s_wait_xcnt 0x0
	s_add_nc_u64 s[20:21], s[2:3], s[14:15]
	s_add_nc_u64 s[14:15], s[14:15], 1
	global_load_u8 v0, v9, s[20:21]
	s_cmp_lg_u32 s18, s14
	s_wait_loadcnt 0x0
	v_and_b32_e32 v8, 0xffff, v0
	s_delay_alu instid0(VALU_DEP_1) | instskip(SKIP_1) | instid1(VALU_DEP_1)
	v_lshlrev_b64_e32 v[0:1], s12, v[8:9]
	s_add_nc_u64 s[12:13], s[12:13], 8
	v_or_b32_e32 v18, v0, v18
	s_delay_alu instid0(VALU_DEP_2)
	v_or_b32_e32 v19, v1, v19
	s_cbranch_scc1 .LBB4_47
.LBB4_48:                               ;   in Loop: Header=BB4_30 Depth=1
	s_wait_xcnt 0x0
	s_mov_b64 s[12:13], s[2:3]
	s_mov_b32 s17, 0
	s_cbranch_execz .LBB4_50
	s_branch .LBB4_51
.LBB4_49:                               ;   in Loop: Header=BB4_30 Depth=1
	s_wait_xcnt 0x0
	s_add_nc_u64 s[12:13], s[2:3], 8
	s_mov_b32 s17, 0
.LBB4_50:                               ;   in Loop: Header=BB4_30 Depth=1
	global_load_b64 v[18:19], v9, s[2:3]
	s_add_co_i32 s17, s18, -8
.LBB4_51:                               ;   in Loop: Header=BB4_30 Depth=1
	s_delay_alu instid0(SALU_CYCLE_1)
	s_cmp_gt_u32 s17, 7
	s_cbranch_scc1 .LBB4_56
; %bb.52:                               ;   in Loop: Header=BB4_30 Depth=1
	v_mov_b64_e32 v[20:21], 0
	s_cmp_eq_u32 s17, 0
	s_cbranch_scc1 .LBB4_55
; %bb.53:                               ;   in Loop: Header=BB4_30 Depth=1
	s_wait_xcnt 0x0
	s_mov_b64 s[2:3], 0
	s_mov_b64 s[14:15], 0
.LBB4_54:                               ;   Parent Loop BB4_30 Depth=1
                                        ; =>  This Inner Loop Header: Depth=2
	s_wait_xcnt 0x0
	s_add_nc_u64 s[18:19], s[12:13], s[14:15]
	s_add_nc_u64 s[14:15], s[14:15], 1
	global_load_u8 v0, v9, s[18:19]
	s_cmp_lg_u32 s17, s14
	s_wait_loadcnt 0x0
	v_and_b32_e32 v8, 0xffff, v0
	s_delay_alu instid0(VALU_DEP_1) | instskip(SKIP_1) | instid1(VALU_DEP_1)
	v_lshlrev_b64_e32 v[0:1], s2, v[8:9]
	s_add_nc_u64 s[2:3], s[2:3], 8
	v_or_b32_e32 v20, v0, v20
	s_delay_alu instid0(VALU_DEP_2)
	v_or_b32_e32 v21, v1, v21
	s_cbranch_scc1 .LBB4_54
.LBB4_55:                               ;   in Loop: Header=BB4_30 Depth=1
	s_wait_xcnt 0x0
	s_mov_b64 s[2:3], s[12:13]
	s_mov_b32 s18, 0
	s_cbranch_execz .LBB4_57
	s_branch .LBB4_58
.LBB4_56:                               ;   in Loop: Header=BB4_30 Depth=1
	s_wait_xcnt 0x0
	s_add_nc_u64 s[2:3], s[12:13], 8
                                        ; implicit-def: $vgpr20_vgpr21
	s_mov_b32 s18, 0
.LBB4_57:                               ;   in Loop: Header=BB4_30 Depth=1
	global_load_b64 v[20:21], v9, s[12:13]
	s_add_co_i32 s18, s17, -8
.LBB4_58:                               ;   in Loop: Header=BB4_30 Depth=1
	s_delay_alu instid0(SALU_CYCLE_1)
	s_cmp_gt_u32 s18, 7
	s_cbranch_scc1 .LBB4_63
; %bb.59:                               ;   in Loop: Header=BB4_30 Depth=1
	v_mov_b64_e32 v[22:23], 0
	s_cmp_eq_u32 s18, 0
	s_cbranch_scc1 .LBB4_62
; %bb.60:                               ;   in Loop: Header=BB4_30 Depth=1
	s_wait_xcnt 0x0
	s_mov_b64 s[12:13], 0
	s_mov_b64 s[14:15], 0
.LBB4_61:                               ;   Parent Loop BB4_30 Depth=1
                                        ; =>  This Inner Loop Header: Depth=2
	s_wait_xcnt 0x0
	s_add_nc_u64 s[20:21], s[2:3], s[14:15]
	s_add_nc_u64 s[14:15], s[14:15], 1
	global_load_u8 v0, v9, s[20:21]
	s_cmp_lg_u32 s18, s14
	s_wait_loadcnt 0x0
	v_and_b32_e32 v8, 0xffff, v0
	s_delay_alu instid0(VALU_DEP_1) | instskip(SKIP_1) | instid1(VALU_DEP_1)
	v_lshlrev_b64_e32 v[0:1], s12, v[8:9]
	s_add_nc_u64 s[12:13], s[12:13], 8
	v_or_b32_e32 v22, v0, v22
	s_delay_alu instid0(VALU_DEP_2)
	v_or_b32_e32 v23, v1, v23
	s_cbranch_scc1 .LBB4_61
.LBB4_62:                               ;   in Loop: Header=BB4_30 Depth=1
	s_wait_xcnt 0x0
	s_mov_b64 s[12:13], s[2:3]
	s_mov_b32 s17, 0
	s_cbranch_execz .LBB4_64
	s_branch .LBB4_65
.LBB4_63:                               ;   in Loop: Header=BB4_30 Depth=1
	s_wait_xcnt 0x0
	s_add_nc_u64 s[12:13], s[2:3], 8
	s_mov_b32 s17, 0
.LBB4_64:                               ;   in Loop: Header=BB4_30 Depth=1
	global_load_b64 v[22:23], v9, s[2:3]
	s_add_co_i32 s17, s18, -8
.LBB4_65:                               ;   in Loop: Header=BB4_30 Depth=1
	s_delay_alu instid0(SALU_CYCLE_1)
	s_cmp_gt_u32 s17, 7
	s_cbranch_scc1 .LBB4_70
; %bb.66:                               ;   in Loop: Header=BB4_30 Depth=1
	v_mov_b64_e32 v[24:25], 0
	s_cmp_eq_u32 s17, 0
	s_cbranch_scc1 .LBB4_69
; %bb.67:                               ;   in Loop: Header=BB4_30 Depth=1
	s_wait_xcnt 0x0
	s_mov_b64 s[2:3], 0
	s_mov_b64 s[14:15], 0
.LBB4_68:                               ;   Parent Loop BB4_30 Depth=1
                                        ; =>  This Inner Loop Header: Depth=2
	s_wait_xcnt 0x0
	s_add_nc_u64 s[18:19], s[12:13], s[14:15]
	s_add_nc_u64 s[14:15], s[14:15], 1
	global_load_u8 v0, v9, s[18:19]
	s_cmp_lg_u32 s17, s14
	s_wait_loadcnt 0x0
	v_and_b32_e32 v8, 0xffff, v0
	s_delay_alu instid0(VALU_DEP_1) | instskip(SKIP_1) | instid1(VALU_DEP_1)
	v_lshlrev_b64_e32 v[0:1], s2, v[8:9]
	s_add_nc_u64 s[2:3], s[2:3], 8
	v_or_b32_e32 v24, v0, v24
	s_delay_alu instid0(VALU_DEP_2)
	v_or_b32_e32 v25, v1, v25
	s_cbranch_scc1 .LBB4_68
.LBB4_69:                               ;   in Loop: Header=BB4_30 Depth=1
	s_wait_xcnt 0x0
	s_mov_b64 s[2:3], s[12:13]
	s_mov_b32 s18, 0
	s_cbranch_execz .LBB4_71
	s_branch .LBB4_72
.LBB4_70:                               ;   in Loop: Header=BB4_30 Depth=1
	s_wait_xcnt 0x0
	s_add_nc_u64 s[2:3], s[12:13], 8
                                        ; implicit-def: $vgpr24_vgpr25
	s_mov_b32 s18, 0
.LBB4_71:                               ;   in Loop: Header=BB4_30 Depth=1
	global_load_b64 v[24:25], v9, s[12:13]
	s_add_co_i32 s18, s17, -8
.LBB4_72:                               ;   in Loop: Header=BB4_30 Depth=1
	s_delay_alu instid0(SALU_CYCLE_1)
	s_cmp_gt_u32 s18, 7
	s_cbranch_scc1 .LBB4_77
; %bb.73:                               ;   in Loop: Header=BB4_30 Depth=1
	v_mov_b64_e32 v[26:27], 0
	s_cmp_eq_u32 s18, 0
	s_cbranch_scc1 .LBB4_76
; %bb.74:                               ;   in Loop: Header=BB4_30 Depth=1
	s_wait_xcnt 0x0
	s_mov_b64 s[12:13], 0
	s_mov_b64 s[14:15], s[2:3]
.LBB4_75:                               ;   Parent Loop BB4_30 Depth=1
                                        ; =>  This Inner Loop Header: Depth=2
	global_load_u8 v0, v9, s[14:15]
	s_add_co_i32 s18, s18, -1
	s_wait_xcnt 0x0
	s_add_nc_u64 s[14:15], s[14:15], 1
	s_cmp_lg_u32 s18, 0
	s_wait_loadcnt 0x0
	v_and_b32_e32 v8, 0xffff, v0
	s_delay_alu instid0(VALU_DEP_1) | instskip(SKIP_1) | instid1(VALU_DEP_1)
	v_lshlrev_b64_e32 v[0:1], s12, v[8:9]
	s_add_nc_u64 s[12:13], s[12:13], 8
	v_or_b32_e32 v26, v0, v26
	s_delay_alu instid0(VALU_DEP_2)
	v_or_b32_e32 v27, v1, v27
	s_cbranch_scc1 .LBB4_75
.LBB4_76:                               ;   in Loop: Header=BB4_30 Depth=1
	s_wait_xcnt 0x0
	s_cbranch_execz .LBB4_78
	s_branch .LBB4_79
.LBB4_77:                               ;   in Loop: Header=BB4_30 Depth=1
	s_wait_xcnt 0x0
.LBB4_78:                               ;   in Loop: Header=BB4_30 Depth=1
	global_load_b64 v[26:27], v9, s[2:3]
.LBB4_79:                               ;   in Loop: Header=BB4_30 Depth=1
	s_wait_xcnt 0x0
	v_readfirstlane_b32 s2, v3
	v_mov_b64_e32 v[0:1], 0
	s_delay_alu instid0(VALU_DEP_2)
	v_cmp_eq_u32_e64 s2, s2, v3
	s_and_saveexec_b32 s3, s2
	s_cbranch_execz .LBB4_85
; %bb.80:                               ;   in Loop: Header=BB4_30 Depth=1
	global_load_b64 v[30:31], v9, s[4:5] offset:24 scope:SCOPE_SYS
	s_wait_loadcnt 0x0
	global_inv scope:SCOPE_SYS
	s_clause 0x1
	global_load_b64 v[0:1], v9, s[4:5] offset:40
	global_load_b64 v[28:29], v9, s[4:5]
	s_mov_b32 s12, exec_lo
	s_wait_loadcnt 0x1
	v_and_b32_e32 v0, v0, v30
	v_and_b32_e32 v1, v1, v31
	s_delay_alu instid0(VALU_DEP_1) | instskip(SKIP_1) | instid1(VALU_DEP_1)
	v_mul_u64_e32 v[0:1], 24, v[0:1]
	s_wait_loadcnt 0x0
	v_add_nc_u64_e32 v[0:1], v[28:29], v[0:1]
	global_load_b64 v[28:29], v[0:1], off scope:SCOPE_SYS
	s_wait_xcnt 0x0
	s_wait_loadcnt 0x0
	global_atomic_cmpswap_b64 v[0:1], v9, v[28:31], s[4:5] offset:24 th:TH_ATOMIC_RETURN scope:SCOPE_SYS
	s_wait_loadcnt 0x0
	global_inv scope:SCOPE_SYS
	s_wait_xcnt 0x0
	v_cmpx_ne_u64_e64 v[0:1], v[30:31]
	s_cbranch_execz .LBB4_84
; %bb.81:                               ;   in Loop: Header=BB4_30 Depth=1
	s_mov_b32 s13, 0
.LBB4_82:                               ;   Parent Loop BB4_30 Depth=1
                                        ; =>  This Inner Loop Header: Depth=2
	s_sleep 1
	s_clause 0x1
	global_load_b64 v[28:29], v9, s[4:5] offset:40
	global_load_b64 v[32:33], v9, s[4:5]
	v_mov_b64_e32 v[30:31], v[0:1]
	s_wait_loadcnt 0x1
	s_delay_alu instid0(VALU_DEP_1) | instskip(NEXT) | instid1(VALU_DEP_2)
	v_and_b32_e32 v0, v28, v30
	v_and_b32_e32 v5, v29, v31
	s_wait_loadcnt 0x0
	s_delay_alu instid0(VALU_DEP_2) | instskip(NEXT) | instid1(VALU_DEP_1)
	v_mad_nc_u64_u32 v[0:1], v0, 24, v[32:33]
	v_mad_u32 v1, v5, 24, v1
	global_load_b64 v[28:29], v[0:1], off scope:SCOPE_SYS
	s_wait_xcnt 0x0
	s_wait_loadcnt 0x0
	global_atomic_cmpswap_b64 v[0:1], v9, v[28:31], s[4:5] offset:24 th:TH_ATOMIC_RETURN scope:SCOPE_SYS
	s_wait_loadcnt 0x0
	global_inv scope:SCOPE_SYS
	v_cmp_eq_u64_e32 vcc_lo, v[0:1], v[30:31]
	s_or_b32 s13, vcc_lo, s13
	s_wait_xcnt 0x0
	s_and_not1_b32 exec_lo, exec_lo, s13
	s_cbranch_execnz .LBB4_82
; %bb.83:                               ;   in Loop: Header=BB4_30 Depth=1
	s_or_b32 exec_lo, exec_lo, s13
.LBB4_84:                               ;   in Loop: Header=BB4_30 Depth=1
	s_delay_alu instid0(SALU_CYCLE_1)
	s_or_b32 exec_lo, exec_lo, s12
.LBB4_85:                               ;   in Loop: Header=BB4_30 Depth=1
	s_delay_alu instid0(SALU_CYCLE_1)
	s_or_b32 exec_lo, exec_lo, s3
	s_clause 0x1
	global_load_b64 v[32:33], v9, s[4:5] offset:40
	global_load_b128 v[28:31], v9, s[4:5]
	v_readfirstlane_b32 s12, v0
	v_readfirstlane_b32 s13, v1
	s_mov_b32 s3, exec_lo
	s_wait_loadcnt 0x1
	v_and_b32_e32 v32, s12, v32
	v_and_b32_e32 v33, s13, v33
	s_delay_alu instid0(VALU_DEP_1) | instskip(SKIP_1) | instid1(VALU_DEP_1)
	v_mul_u64_e32 v[0:1], 24, v[32:33]
	s_wait_loadcnt 0x0
	v_add_nc_u64_e32 v[0:1], v[28:29], v[0:1]
	s_wait_xcnt 0x0
	s_and_saveexec_b32 s14, s2
	s_cbranch_execz .LBB4_87
; %bb.86:                               ;   in Loop: Header=BB4_30 Depth=1
	v_mov_b32_e32 v8, s3
	global_store_b128 v[0:1], v[8:11], off offset:8
.LBB4_87:                               ;   in Loop: Header=BB4_30 Depth=1
	s_wait_xcnt 0x0
	s_or_b32 exec_lo, exec_lo, s14
	v_cmp_gt_u64_e64 s3, s[8:9], 56
	v_lshlrev_b64_e32 v[32:33], 12, v[32:33]
	v_and_b32_e32 v5, 0xffffff1f, v12
	s_and_b32 s3, s3, exec_lo
	s_delay_alu instid0(VALU_DEP_2) | instskip(SKIP_4) | instid1(VALU_DEP_2)
	v_add_nc_u64_e32 v[30:31], v[30:31], v[32:33]
	s_cselect_b32 s3, 0, 2
	s_lshl_b32 s14, s10, 2
	v_or_b32_e32 v5, s3, v5
	s_add_co_i32 s3, s14, 28
	v_readfirstlane_b32 s14, v30
	s_delay_alu instid0(VALU_DEP_3) | instskip(NEXT) | instid1(VALU_DEP_3)
	v_readfirstlane_b32 s15, v31
	v_and_or_b32 v12, 0x1e0, s3, v5
	s_clause 0x3
	global_store_b128 v4, v[12:15], s[14:15]
	global_store_b128 v4, v[16:19], s[14:15] offset:16
	global_store_b128 v4, v[20:23], s[14:15] offset:32
	;; [unrolled: 1-line block ×3, first 2 shown]
	s_wait_xcnt 0x0
	s_and_saveexec_b32 s3, s2
	s_cbranch_execz .LBB4_95
; %bb.88:                               ;   in Loop: Header=BB4_30 Depth=1
	s_clause 0x1
	global_load_b64 v[20:21], v9, s[4:5] offset:32 scope:SCOPE_SYS
	global_load_b64 v[12:13], v9, s[4:5] offset:40
	s_mov_b32 s14, exec_lo
	v_dual_mov_b32 v18, s12 :: v_dual_mov_b32 v19, s13
	s_wait_loadcnt 0x0
	v_and_b32_e32 v13, s13, v13
	v_and_b32_e32 v12, s12, v12
	s_delay_alu instid0(VALU_DEP_1) | instskip(NEXT) | instid1(VALU_DEP_1)
	v_mul_u64_e32 v[12:13], 24, v[12:13]
	v_add_nc_u64_e32 v[16:17], v[28:29], v[12:13]
	global_store_b64 v[16:17], v[20:21], off
	global_wb scope:SCOPE_SYS
	s_wait_storecnt 0x0
	s_wait_xcnt 0x0
	global_atomic_cmpswap_b64 v[14:15], v9, v[18:21], s[4:5] offset:32 th:TH_ATOMIC_RETURN scope:SCOPE_SYS
	s_wait_loadcnt 0x0
	v_cmpx_ne_u64_e64 v[14:15], v[20:21]
	s_cbranch_execz .LBB4_91
; %bb.89:                               ;   in Loop: Header=BB4_30 Depth=1
	s_mov_b32 s15, 0
.LBB4_90:                               ;   Parent Loop BB4_30 Depth=1
                                        ; =>  This Inner Loop Header: Depth=2
	v_dual_mov_b32 v12, s12 :: v_dual_mov_b32 v13, s13
	s_sleep 1
	global_store_b64 v[16:17], v[14:15], off
	global_wb scope:SCOPE_SYS
	s_wait_storecnt 0x0
	s_wait_xcnt 0x0
	global_atomic_cmpswap_b64 v[12:13], v9, v[12:15], s[4:5] offset:32 th:TH_ATOMIC_RETURN scope:SCOPE_SYS
	s_wait_loadcnt 0x0
	v_cmp_eq_u64_e32 vcc_lo, v[12:13], v[14:15]
	v_mov_b64_e32 v[14:15], v[12:13]
	s_or_b32 s15, vcc_lo, s15
	s_delay_alu instid0(SALU_CYCLE_1)
	s_and_not1_b32 exec_lo, exec_lo, s15
	s_cbranch_execnz .LBB4_90
.LBB4_91:                               ;   in Loop: Header=BB4_30 Depth=1
	s_or_b32 exec_lo, exec_lo, s14
	global_load_b64 v[12:13], v9, s[4:5] offset:16
	s_mov_b32 s15, exec_lo
	s_mov_b32 s14, exec_lo
	v_mbcnt_lo_u32_b32 v5, s15, 0
	s_wait_xcnt 0x0
	s_delay_alu instid0(VALU_DEP_1)
	v_cmpx_eq_u32_e32 0, v5
	s_cbranch_execz .LBB4_93
; %bb.92:                               ;   in Loop: Header=BB4_30 Depth=1
	s_bcnt1_i32_b32 s15, s15
	s_delay_alu instid0(SALU_CYCLE_1)
	v_mov_b32_e32 v8, s15
	global_wb scope:SCOPE_SYS
	s_wait_loadcnt 0x0
	s_wait_storecnt 0x0
	global_atomic_add_u64 v[12:13], v[8:9], off offset:8 scope:SCOPE_SYS
.LBB4_93:                               ;   in Loop: Header=BB4_30 Depth=1
	s_wait_xcnt 0x0
	s_or_b32 exec_lo, exec_lo, s14
	s_wait_loadcnt 0x0
	global_load_b64 v[14:15], v[12:13], off offset:16
	s_wait_loadcnt 0x0
	v_cmp_eq_u64_e32 vcc_lo, 0, v[14:15]
	s_cbranch_vccnz .LBB4_95
; %bb.94:                               ;   in Loop: Header=BB4_30 Depth=1
	global_load_b32 v8, v[12:13], off offset:24
	s_wait_loadcnt 0x0
	v_readfirstlane_b32 s14, v8
	global_wb scope:SCOPE_SYS
	s_wait_storecnt 0x0
	s_wait_xcnt 0x0
	global_store_b64 v[14:15], v[8:9], off scope:SCOPE_SYS
	s_and_b32 m0, s14, 0xffffff
	s_sendmsg sendmsg(MSG_INTERRUPT)
.LBB4_95:                               ;   in Loop: Header=BB4_30 Depth=1
	s_wait_xcnt 0x0
	s_or_b32 exec_lo, exec_lo, s3
	v_mov_b32_e32 v5, v9
	s_delay_alu instid0(VALU_DEP_1)
	v_add_nc_u64_e32 v[12:13], v[30:31], v[4:5]
	s_branch .LBB4_99
.LBB4_96:                               ;   in Loop: Header=BB4_99 Depth=2
	s_wait_xcnt 0x0
	s_or_b32 exec_lo, exec_lo, s3
	s_delay_alu instid0(VALU_DEP_1)
	v_readfirstlane_b32 s3, v5
	s_cmp_eq_u32 s3, 0
	s_cbranch_scc1 .LBB4_98
; %bb.97:                               ;   in Loop: Header=BB4_99 Depth=2
	s_sleep 1
	s_cbranch_execnz .LBB4_99
	s_branch .LBB4_101
.LBB4_98:                               ;   in Loop: Header=BB4_30 Depth=1
	s_branch .LBB4_101
.LBB4_99:                               ;   Parent Loop BB4_30 Depth=1
                                        ; =>  This Inner Loop Header: Depth=2
	v_mov_b32_e32 v5, 1
	s_and_saveexec_b32 s3, s2
	s_cbranch_execz .LBB4_96
; %bb.100:                              ;   in Loop: Header=BB4_99 Depth=2
	global_load_b32 v5, v[0:1], off offset:20 scope:SCOPE_SYS
	s_wait_loadcnt 0x0
	global_inv scope:SCOPE_SYS
	v_and_b32_e32 v5, 1, v5
	s_branch .LBB4_96
.LBB4_101:                              ;   in Loop: Header=BB4_30 Depth=1
	global_load_b128 v[12:15], v[12:13], off
	s_wait_xcnt 0x0
	s_and_saveexec_b32 s14, s2
	s_cbranch_execz .LBB4_29
; %bb.102:                              ;   in Loop: Header=BB4_30 Depth=1
	s_clause 0x1
	global_load_b64 v[0:1], v9, s[4:5] offset:40
	global_load_b64 v[18:19], v9, s[4:5] offset:24 scope:SCOPE_SYS
	s_wait_loadcnt 0x2
	global_load_b64 v[14:15], v9, s[4:5]
	s_wait_loadcnt 0x2
	v_readfirstlane_b32 s18, v0
	v_readfirstlane_b32 s19, v1
	s_add_nc_u64 s[2:3], s[18:19], 1
	s_delay_alu instid0(SALU_CYCLE_1) | instskip(NEXT) | instid1(SALU_CYCLE_1)
	s_add_nc_u64 s[12:13], s[2:3], s[12:13]
	s_cmp_eq_u64 s[12:13], 0
	s_cselect_b32 s3, s3, s13
	s_cselect_b32 s2, s2, s12
	s_delay_alu instid0(SALU_CYCLE_1) | instskip(SKIP_1) | instid1(SALU_CYCLE_1)
	v_dual_mov_b32 v17, s3 :: v_dual_mov_b32 v16, s2
	s_and_b64 s[12:13], s[2:3], s[18:19]
	s_mul_u64 s[12:13], s[12:13], 24
	s_wait_loadcnt 0x0
	v_add_nc_u64_e32 v[0:1], s[12:13], v[14:15]
	global_store_b64 v[0:1], v[18:19], off
	global_wb scope:SCOPE_SYS
	s_wait_storecnt 0x0
	s_wait_xcnt 0x0
	global_atomic_cmpswap_b64 v[16:17], v9, v[16:19], s[4:5] offset:24 th:TH_ATOMIC_RETURN scope:SCOPE_SYS
	s_wait_loadcnt 0x0
	v_cmp_ne_u64_e32 vcc_lo, v[16:17], v[18:19]
	s_and_b32 exec_lo, exec_lo, vcc_lo
	s_cbranch_execz .LBB4_29
; %bb.103:                              ;   in Loop: Header=BB4_30 Depth=1
	s_mov_b32 s12, 0
.LBB4_104:                              ;   Parent Loop BB4_30 Depth=1
                                        ; =>  This Inner Loop Header: Depth=2
	v_dual_mov_b32 v14, s2 :: v_dual_mov_b32 v15, s3
	s_sleep 1
	global_store_b64 v[0:1], v[16:17], off
	global_wb scope:SCOPE_SYS
	s_wait_storecnt 0x0
	s_wait_xcnt 0x0
	global_atomic_cmpswap_b64 v[14:15], v9, v[14:17], s[4:5] offset:24 th:TH_ATOMIC_RETURN scope:SCOPE_SYS
	s_wait_loadcnt 0x0
	v_cmp_eq_u64_e32 vcc_lo, v[14:15], v[16:17]
	v_mov_b64_e32 v[16:17], v[14:15]
	s_or_b32 s12, vcc_lo, s12
	s_delay_alu instid0(SALU_CYCLE_1)
	s_and_not1_b32 exec_lo, exec_lo, s12
	s_cbranch_execnz .LBB4_104
	s_branch .LBB4_29
.LBB4_105:
	s_branch .LBB4_133
.LBB4_106:
	s_cbranch_execz .LBB4_133
; %bb.107:
	v_readfirstlane_b32 s2, v3
	v_mov_b64_e32 v[0:1], 0
	s_delay_alu instid0(VALU_DEP_2)
	v_cmp_eq_u32_e64 s2, s2, v3
	s_and_saveexec_b32 s3, s2
	s_cbranch_execz .LBB4_113
; %bb.108:
	v_mov_b32_e32 v3, 0
	s_mov_b32 s6, exec_lo
	global_load_b64 v[10:11], v3, s[4:5] offset:24 scope:SCOPE_SYS
	s_wait_loadcnt 0x0
	global_inv scope:SCOPE_SYS
	s_clause 0x1
	global_load_b64 v[0:1], v3, s[4:5] offset:40
	global_load_b64 v[8:9], v3, s[4:5]
	s_wait_loadcnt 0x1
	v_and_b32_e32 v0, v0, v10
	v_and_b32_e32 v1, v1, v11
	s_delay_alu instid0(VALU_DEP_1) | instskip(SKIP_1) | instid1(VALU_DEP_1)
	v_mul_u64_e32 v[0:1], 24, v[0:1]
	s_wait_loadcnt 0x0
	v_add_nc_u64_e32 v[0:1], v[8:9], v[0:1]
	global_load_b64 v[8:9], v[0:1], off scope:SCOPE_SYS
	s_wait_xcnt 0x0
	s_wait_loadcnt 0x0
	global_atomic_cmpswap_b64 v[0:1], v3, v[8:11], s[4:5] offset:24 th:TH_ATOMIC_RETURN scope:SCOPE_SYS
	s_wait_loadcnt 0x0
	global_inv scope:SCOPE_SYS
	s_wait_xcnt 0x0
	v_cmpx_ne_u64_e64 v[0:1], v[10:11]
	s_cbranch_execz .LBB4_112
; %bb.109:
	s_mov_b32 s7, 0
.LBB4_110:                              ; =>This Inner Loop Header: Depth=1
	s_sleep 1
	s_clause 0x1
	global_load_b64 v[8:9], v3, s[4:5] offset:40
	global_load_b64 v[12:13], v3, s[4:5]
	v_mov_b64_e32 v[10:11], v[0:1]
	s_wait_loadcnt 0x1
	s_delay_alu instid0(VALU_DEP_1) | instskip(NEXT) | instid1(VALU_DEP_2)
	v_and_b32_e32 v0, v8, v10
	v_and_b32_e32 v5, v9, v11
	s_wait_loadcnt 0x0
	s_delay_alu instid0(VALU_DEP_2) | instskip(NEXT) | instid1(VALU_DEP_1)
	v_mad_nc_u64_u32 v[0:1], v0, 24, v[12:13]
	v_mad_u32 v1, v5, 24, v1
	global_load_b64 v[8:9], v[0:1], off scope:SCOPE_SYS
	s_wait_xcnt 0x0
	s_wait_loadcnt 0x0
	global_atomic_cmpswap_b64 v[0:1], v3, v[8:11], s[4:5] offset:24 th:TH_ATOMIC_RETURN scope:SCOPE_SYS
	s_wait_loadcnt 0x0
	global_inv scope:SCOPE_SYS
	v_cmp_eq_u64_e32 vcc_lo, v[0:1], v[10:11]
	s_or_b32 s7, vcc_lo, s7
	s_wait_xcnt 0x0
	s_and_not1_b32 exec_lo, exec_lo, s7
	s_cbranch_execnz .LBB4_110
; %bb.111:
	s_or_b32 exec_lo, exec_lo, s7
.LBB4_112:
	s_delay_alu instid0(SALU_CYCLE_1)
	s_or_b32 exec_lo, exec_lo, s6
.LBB4_113:
	s_delay_alu instid0(SALU_CYCLE_1)
	s_or_b32 exec_lo, exec_lo, s3
	v_readfirstlane_b32 s6, v0
	v_mov_b32_e32 v8, 0
	v_readfirstlane_b32 s7, v1
	s_mov_b32 s3, exec_lo
	s_wait_loadcnt 0x0
	s_clause 0x1
	global_load_b64 v[14:15], v8, s[4:5] offset:40
	global_load_b128 v[10:13], v8, s[4:5]
	s_wait_loadcnt 0x1
	v_and_b32_e32 v14, s6, v14
	v_and_b32_e32 v15, s7, v15
	s_delay_alu instid0(VALU_DEP_1) | instskip(SKIP_1) | instid1(VALU_DEP_1)
	v_mul_u64_e32 v[0:1], 24, v[14:15]
	s_wait_loadcnt 0x0
	v_add_nc_u64_e32 v[0:1], v[10:11], v[0:1]
	s_wait_xcnt 0x0
	s_and_saveexec_b32 s8, s2
	s_cbranch_execz .LBB4_115
; %bb.114:
	v_mov_b64_e32 v[18:19], 0x100000002
	v_dual_mov_b32 v16, s3 :: v_dual_mov_b32 v17, v8
	global_store_b128 v[0:1], v[16:19], off offset:8
.LBB4_115:
	s_wait_xcnt 0x0
	s_or_b32 exec_lo, exec_lo, s8
	v_lshlrev_b64_e32 v[14:15], 12, v[14:15]
	s_mov_b32 s8, 0
	v_and_or_b32 v6, 0xffffff1d, v6, 34
	s_mov_b32 s10, s8
	s_mov_b32 s11, s8
	;; [unrolled: 1-line block ×3, first 2 shown]
	v_mov_b32_e32 v9, v8
	v_add_nc_u64_e32 v[12:13], v[12:13], v[14:15]
	s_delay_alu instid0(VALU_DEP_1) | instskip(NEXT) | instid1(VALU_DEP_2)
	v_readfirstlane_b32 s12, v12
	v_readfirstlane_b32 s13, v13
	v_mov_b64_e32 v[14:15], s[10:11]
	v_mov_b64_e32 v[12:13], s[8:9]
	s_clause 0x3
	global_store_b128 v4, v[6:9], s[12:13]
	global_store_b128 v4, v[12:15], s[12:13] offset:16
	global_store_b128 v4, v[12:15], s[12:13] offset:32
	;; [unrolled: 1-line block ×3, first 2 shown]
	s_wait_xcnt 0x0
	s_and_saveexec_b32 s3, s2
	s_cbranch_execz .LBB4_123
; %bb.116:
	v_mov_b32_e32 v3, 0
	s_mov_b32 s8, exec_lo
	s_clause 0x1
	global_load_b64 v[12:13], v3, s[4:5] offset:32 scope:SCOPE_SYS
	global_load_b64 v[4:5], v3, s[4:5] offset:40
	s_wait_loadcnt 0x0
	v_and_b32_e32 v4, s6, v4
	v_and_b32_e32 v5, s7, v5
	s_delay_alu instid0(VALU_DEP_1) | instskip(NEXT) | instid1(VALU_DEP_1)
	v_mul_u64_e32 v[4:5], 24, v[4:5]
	v_add_nc_u64_e32 v[8:9], v[10:11], v[4:5]
	v_dual_mov_b32 v10, s6 :: v_dual_mov_b32 v11, s7
	global_store_b64 v[8:9], v[12:13], off
	global_wb scope:SCOPE_SYS
	s_wait_storecnt 0x0
	s_wait_xcnt 0x0
	global_atomic_cmpswap_b64 v[6:7], v3, v[10:13], s[4:5] offset:32 th:TH_ATOMIC_RETURN scope:SCOPE_SYS
	s_wait_loadcnt 0x0
	v_cmpx_ne_u64_e64 v[6:7], v[12:13]
	s_cbranch_execz .LBB4_119
; %bb.117:
	s_mov_b32 s9, 0
.LBB4_118:                              ; =>This Inner Loop Header: Depth=1
	v_dual_mov_b32 v4, s6 :: v_dual_mov_b32 v5, s7
	s_sleep 1
	global_store_b64 v[8:9], v[6:7], off
	global_wb scope:SCOPE_SYS
	s_wait_storecnt 0x0
	s_wait_xcnt 0x0
	global_atomic_cmpswap_b64 v[4:5], v3, v[4:7], s[4:5] offset:32 th:TH_ATOMIC_RETURN scope:SCOPE_SYS
	s_wait_loadcnt 0x0
	v_cmp_eq_u64_e32 vcc_lo, v[4:5], v[6:7]
	v_mov_b64_e32 v[6:7], v[4:5]
	s_or_b32 s9, vcc_lo, s9
	s_delay_alu instid0(SALU_CYCLE_1)
	s_and_not1_b32 exec_lo, exec_lo, s9
	s_cbranch_execnz .LBB4_118
.LBB4_119:
	s_or_b32 exec_lo, exec_lo, s8
	v_mov_b32_e32 v7, 0
	s_mov_b32 s9, exec_lo
	s_mov_b32 s8, exec_lo
	v_mbcnt_lo_u32_b32 v3, s9, 0
	global_load_b64 v[4:5], v7, s[4:5] offset:16
	s_wait_xcnt 0x0
	v_cmpx_eq_u32_e32 0, v3
	s_cbranch_execz .LBB4_121
; %bb.120:
	s_bcnt1_i32_b32 s9, s9
	s_delay_alu instid0(SALU_CYCLE_1)
	v_mov_b32_e32 v6, s9
	global_wb scope:SCOPE_SYS
	s_wait_loadcnt 0x0
	s_wait_storecnt 0x0
	global_atomic_add_u64 v[4:5], v[6:7], off offset:8 scope:SCOPE_SYS
.LBB4_121:
	s_wait_xcnt 0x0
	s_or_b32 exec_lo, exec_lo, s8
	s_wait_loadcnt 0x0
	global_load_b64 v[6:7], v[4:5], off offset:16
	s_wait_loadcnt 0x0
	v_cmp_eq_u64_e32 vcc_lo, 0, v[6:7]
	s_cbranch_vccnz .LBB4_123
; %bb.122:
	global_load_b32 v4, v[4:5], off offset:24
	s_wait_xcnt 0x0
	v_mov_b32_e32 v5, 0
	s_wait_loadcnt 0x0
	v_readfirstlane_b32 s8, v4
	global_wb scope:SCOPE_SYS
	s_wait_storecnt 0x0
	global_store_b64 v[6:7], v[4:5], off scope:SCOPE_SYS
	s_and_b32 m0, s8, 0xffffff
	s_sendmsg sendmsg(MSG_INTERRUPT)
.LBB4_123:
	s_wait_xcnt 0x0
	s_or_b32 exec_lo, exec_lo, s3
	s_branch .LBB4_127
.LBB4_124:                              ;   in Loop: Header=BB4_127 Depth=1
	s_wait_xcnt 0x0
	s_or_b32 exec_lo, exec_lo, s3
	s_delay_alu instid0(VALU_DEP_1)
	v_readfirstlane_b32 s3, v3
	s_cmp_eq_u32 s3, 0
	s_cbranch_scc1 .LBB4_126
; %bb.125:                              ;   in Loop: Header=BB4_127 Depth=1
	s_sleep 1
	s_cbranch_execnz .LBB4_127
	s_branch .LBB4_129
.LBB4_126:
	s_branch .LBB4_129
.LBB4_127:                              ; =>This Inner Loop Header: Depth=1
	v_mov_b32_e32 v3, 1
	s_and_saveexec_b32 s3, s2
	s_cbranch_execz .LBB4_124
; %bb.128:                              ;   in Loop: Header=BB4_127 Depth=1
	global_load_b32 v3, v[0:1], off offset:20 scope:SCOPE_SYS
	s_wait_loadcnt 0x0
	global_inv scope:SCOPE_SYS
	v_and_b32_e32 v3, 1, v3
	s_branch .LBB4_124
.LBB4_129:
	s_and_b32 exec_lo, exec_lo, s2
	s_cbranch_execz .LBB4_133
; %bb.130:
	v_mov_b32_e32 v3, 0
	s_clause 0x2
	global_load_b64 v[0:1], v3, s[4:5] offset:40
	global_load_b64 v[8:9], v3, s[4:5] offset:24 scope:SCOPE_SYS
	global_load_b64 v[4:5], v3, s[4:5]
	s_wait_loadcnt 0x2
	v_readfirstlane_b32 s8, v0
	v_readfirstlane_b32 s9, v1
	s_add_nc_u64 s[2:3], s[8:9], 1
	s_delay_alu instid0(SALU_CYCLE_1) | instskip(NEXT) | instid1(SALU_CYCLE_1)
	s_add_nc_u64 s[6:7], s[2:3], s[6:7]
	s_cmp_eq_u64 s[6:7], 0
	s_cselect_b32 s3, s3, s7
	s_cselect_b32 s2, s2, s6
	v_mov_b32_e32 v7, s3
	s_and_b64 s[6:7], s[2:3], s[8:9]
	v_mov_b32_e32 v6, s2
	s_mul_u64 s[6:7], s[6:7], 24
	s_wait_loadcnt 0x0
	v_add_nc_u64_e32 v[0:1], s[6:7], v[4:5]
	global_store_b64 v[0:1], v[8:9], off
	global_wb scope:SCOPE_SYS
	s_wait_storecnt 0x0
	s_wait_xcnt 0x0
	global_atomic_cmpswap_b64 v[6:7], v3, v[6:9], s[4:5] offset:24 th:TH_ATOMIC_RETURN scope:SCOPE_SYS
	s_wait_loadcnt 0x0
	v_cmp_ne_u64_e32 vcc_lo, v[6:7], v[8:9]
	s_and_b32 exec_lo, exec_lo, vcc_lo
	s_cbranch_execz .LBB4_133
; %bb.131:
	s_mov_b32 s6, 0
.LBB4_132:                              ; =>This Inner Loop Header: Depth=1
	v_dual_mov_b32 v4, s2 :: v_dual_mov_b32 v5, s3
	s_sleep 1
	global_store_b64 v[0:1], v[6:7], off
	global_wb scope:SCOPE_SYS
	s_wait_storecnt 0x0
	s_wait_xcnt 0x0
	global_atomic_cmpswap_b64 v[4:5], v3, v[4:7], s[4:5] offset:24 th:TH_ATOMIC_RETURN scope:SCOPE_SYS
	s_wait_loadcnt 0x0
	v_cmp_eq_u64_e32 vcc_lo, v[4:5], v[6:7]
	v_mov_b64_e32 v[6:7], v[4:5]
	s_or_b32 s6, vcc_lo, s6
	s_delay_alu instid0(SALU_CYCLE_1)
	s_and_not1_b32 exec_lo, exec_lo, s6
	s_cbranch_execnz .LBB4_132
.LBB4_133:
	s_or_b32 exec_lo, exec_lo, s16
	v_and_b32_e32 v0, 1, v2
	s_wait_loadcnt 0x0
	s_wait_storecnt 0x0
	s_barrier_signal -1
	s_barrier_wait -1
	s_mov_b32 s2, exec_lo
	v_cmpx_eq_u32_e32 1, v0
	s_xor_b32 s16, exec_lo, s2
	s_cbranch_execz .LBB4_321
; %bb.134:
	s_mov_b32 s18, exec_lo
	s_mov_b32 s17, exec_lo
	v_mbcnt_lo_u32_b32 v0, s18, 0
	s_delay_alu instid0(VALU_DEP_1)
	v_cmpx_eq_u32_e32 0, v0
	s_cbranch_execz .LBB4_320
; %bb.135:
	s_load_b64 s[4:5], s[0:1], 0x50
	v_mbcnt_lo_u32_b32 v3, -1, 0
	v_mov_b64_e32 v[0:1], 0
	s_delay_alu instid0(VALU_DEP_2) | instskip(NEXT) | instid1(VALU_DEP_1)
	v_readfirstlane_b32 s2, v3
	v_cmp_eq_u32_e64 s2, s2, v3
	s_and_saveexec_b32 s3, s2
	s_cbranch_execz .LBB4_141
; %bb.136:
	v_mov_b32_e32 v4, 0
	s_mov_b32 s6, exec_lo
	s_wait_kmcnt 0x0
	global_load_b64 v[8:9], v4, s[4:5] offset:24 scope:SCOPE_SYS
	s_wait_loadcnt 0x0
	global_inv scope:SCOPE_SYS
	s_clause 0x1
	global_load_b64 v[0:1], v4, s[4:5] offset:40
	global_load_b64 v[6:7], v4, s[4:5]
	s_wait_loadcnt 0x1
	v_and_b32_e32 v0, v0, v8
	v_and_b32_e32 v1, v1, v9
	s_delay_alu instid0(VALU_DEP_1) | instskip(SKIP_1) | instid1(VALU_DEP_1)
	v_mul_u64_e32 v[0:1], 24, v[0:1]
	s_wait_loadcnt 0x0
	v_add_nc_u64_e32 v[0:1], v[6:7], v[0:1]
	global_load_b64 v[6:7], v[0:1], off scope:SCOPE_SYS
	s_wait_xcnt 0x0
	s_wait_loadcnt 0x0
	global_atomic_cmpswap_b64 v[0:1], v4, v[6:9], s[4:5] offset:24 th:TH_ATOMIC_RETURN scope:SCOPE_SYS
	s_wait_loadcnt 0x0
	global_inv scope:SCOPE_SYS
	s_wait_xcnt 0x0
	v_cmpx_ne_u64_e64 v[0:1], v[8:9]
	s_cbranch_execz .LBB4_140
; %bb.137:
	s_mov_b32 s7, 0
.LBB4_138:                              ; =>This Inner Loop Header: Depth=1
	s_sleep 1
	s_clause 0x1
	global_load_b64 v[6:7], v4, s[4:5] offset:40
	global_load_b64 v[10:11], v4, s[4:5]
	v_mov_b64_e32 v[8:9], v[0:1]
	s_wait_loadcnt 0x1
	s_delay_alu instid0(VALU_DEP_1) | instskip(NEXT) | instid1(VALU_DEP_2)
	v_and_b32_e32 v0, v6, v8
	v_and_b32_e32 v5, v7, v9
	s_wait_loadcnt 0x0
	s_delay_alu instid0(VALU_DEP_2) | instskip(NEXT) | instid1(VALU_DEP_1)
	v_mad_nc_u64_u32 v[0:1], v0, 24, v[10:11]
	v_mad_u32 v1, v5, 24, v1
	global_load_b64 v[6:7], v[0:1], off scope:SCOPE_SYS
	s_wait_xcnt 0x0
	s_wait_loadcnt 0x0
	global_atomic_cmpswap_b64 v[0:1], v4, v[6:9], s[4:5] offset:24 th:TH_ATOMIC_RETURN scope:SCOPE_SYS
	s_wait_loadcnt 0x0
	global_inv scope:SCOPE_SYS
	v_cmp_eq_u64_e32 vcc_lo, v[0:1], v[8:9]
	s_or_b32 s7, vcc_lo, s7
	s_wait_xcnt 0x0
	s_and_not1_b32 exec_lo, exec_lo, s7
	s_cbranch_execnz .LBB4_138
; %bb.139:
	s_or_b32 exec_lo, exec_lo, s7
.LBB4_140:
	s_delay_alu instid0(SALU_CYCLE_1)
	s_or_b32 exec_lo, exec_lo, s6
.LBB4_141:
	s_delay_alu instid0(SALU_CYCLE_1)
	s_or_b32 exec_lo, exec_lo, s3
	v_readfirstlane_b32 s6, v0
	v_mov_b32_e32 v5, 0
	v_readfirstlane_b32 s7, v1
	s_mov_b32 s3, exec_lo
	s_wait_kmcnt 0x0
	s_clause 0x1
	global_load_b64 v[6:7], v5, s[4:5] offset:40
	global_load_b128 v[8:11], v5, s[4:5]
	s_wait_loadcnt 0x1
	v_and_b32_e32 v12, s6, v6
	v_and_b32_e32 v13, s7, v7
	s_delay_alu instid0(VALU_DEP_1) | instskip(SKIP_1) | instid1(VALU_DEP_1)
	v_mul_u64_e32 v[0:1], 24, v[12:13]
	s_wait_loadcnt 0x0
	v_add_nc_u64_e32 v[0:1], v[8:9], v[0:1]
	s_and_saveexec_b32 s8, s2
	s_cbranch_execz .LBB4_143
; %bb.142:
	v_mov_b64_e32 v[6:7], 0x100000002
	v_mov_b32_e32 v4, s3
	global_store_b128 v[0:1], v[4:7], off offset:8
.LBB4_143:
	s_wait_xcnt 0x0
	s_or_b32 exec_lo, exec_lo, s8
	v_lshlrev_b64_e32 v[6:7], 12, v[12:13]
	s_mov_b32 s8, 0
	v_dual_lshlrev_b32 v4, 6, v3 :: v_dual_mov_b32 v12, 33
	s_mov_b32 s10, s8
	s_mov_b32 s11, s8
	;; [unrolled: 1-line block ×3, first 2 shown]
	s_delay_alu instid0(VALU_DEP_2)
	v_add_nc_u64_e32 v[10:11], v[10:11], v[6:7]
	v_mov_b64_e32 v[18:19], s[10:11]
	v_mov_b64_e32 v[16:17], s[8:9]
	v_dual_mov_b32 v13, v5 :: v_dual_mov_b32 v14, v5
	v_mov_b32_e32 v15, v5
	v_readfirstlane_b32 s12, v10
	v_readfirstlane_b32 s13, v11
	s_clause 0x3
	global_store_b128 v4, v[12:15], s[12:13]
	global_store_b128 v4, v[16:19], s[12:13] offset:16
	global_store_b128 v4, v[16:19], s[12:13] offset:32
	;; [unrolled: 1-line block ×3, first 2 shown]
	s_wait_xcnt 0x0
	s_and_saveexec_b32 s3, s2
	s_cbranch_execz .LBB4_151
; %bb.144:
	v_dual_mov_b32 v14, 0 :: v_dual_mov_b32 v17, s7
	s_mov_b32 s8, exec_lo
	s_clause 0x1
	global_load_b64 v[18:19], v14, s[4:5] offset:32 scope:SCOPE_SYS
	global_load_b64 v[6:7], v14, s[4:5] offset:40
	s_wait_loadcnt 0x0
	v_dual_mov_b32 v16, s6 :: v_dual_bitop2_b32 v7, s7, v7 bitop3:0x40
	v_and_b32_e32 v6, s6, v6
	s_delay_alu instid0(VALU_DEP_1) | instskip(NEXT) | instid1(VALU_DEP_1)
	v_mul_u64_e32 v[6:7], 24, v[6:7]
	v_add_nc_u64_e32 v[12:13], v[8:9], v[6:7]
	global_store_b64 v[12:13], v[18:19], off
	global_wb scope:SCOPE_SYS
	s_wait_storecnt 0x0
	s_wait_xcnt 0x0
	global_atomic_cmpswap_b64 v[8:9], v14, v[16:19], s[4:5] offset:32 th:TH_ATOMIC_RETURN scope:SCOPE_SYS
	s_wait_loadcnt 0x0
	v_cmpx_ne_u64_e64 v[8:9], v[18:19]
	s_cbranch_execz .LBB4_147
; %bb.145:
	s_mov_b32 s9, 0
.LBB4_146:                              ; =>This Inner Loop Header: Depth=1
	v_dual_mov_b32 v6, s6 :: v_dual_mov_b32 v7, s7
	s_sleep 1
	global_store_b64 v[12:13], v[8:9], off
	global_wb scope:SCOPE_SYS
	s_wait_storecnt 0x0
	s_wait_xcnt 0x0
	global_atomic_cmpswap_b64 v[6:7], v14, v[6:9], s[4:5] offset:32 th:TH_ATOMIC_RETURN scope:SCOPE_SYS
	s_wait_loadcnt 0x0
	v_cmp_eq_u64_e32 vcc_lo, v[6:7], v[8:9]
	v_mov_b64_e32 v[8:9], v[6:7]
	s_or_b32 s9, vcc_lo, s9
	s_delay_alu instid0(SALU_CYCLE_1)
	s_and_not1_b32 exec_lo, exec_lo, s9
	s_cbranch_execnz .LBB4_146
.LBB4_147:
	s_or_b32 exec_lo, exec_lo, s8
	v_mov_b32_e32 v9, 0
	s_mov_b32 s9, exec_lo
	s_mov_b32 s8, exec_lo
	v_mbcnt_lo_u32_b32 v8, s9, 0
	global_load_b64 v[6:7], v9, s[4:5] offset:16
	s_wait_xcnt 0x0
	v_cmpx_eq_u32_e32 0, v8
	s_cbranch_execz .LBB4_149
; %bb.148:
	s_bcnt1_i32_b32 s9, s9
	s_delay_alu instid0(SALU_CYCLE_1)
	v_mov_b32_e32 v8, s9
	global_wb scope:SCOPE_SYS
	s_wait_loadcnt 0x0
	s_wait_storecnt 0x0
	global_atomic_add_u64 v[6:7], v[8:9], off offset:8 scope:SCOPE_SYS
.LBB4_149:
	s_wait_xcnt 0x0
	s_or_b32 exec_lo, exec_lo, s8
	s_wait_loadcnt 0x0
	global_load_b64 v[8:9], v[6:7], off offset:16
	s_wait_loadcnt 0x0
	v_cmp_eq_u64_e32 vcc_lo, 0, v[8:9]
	s_cbranch_vccnz .LBB4_151
; %bb.150:
	global_load_b32 v6, v[6:7], off offset:24
	s_wait_xcnt 0x0
	v_mov_b32_e32 v7, 0
	s_wait_loadcnt 0x0
	v_readfirstlane_b32 s8, v6
	global_wb scope:SCOPE_SYS
	s_wait_storecnt 0x0
	global_store_b64 v[8:9], v[6:7], off scope:SCOPE_SYS
	s_and_b32 m0, s8, 0xffffff
	s_sendmsg sendmsg(MSG_INTERRUPT)
.LBB4_151:
	s_wait_xcnt 0x0
	s_or_b32 exec_lo, exec_lo, s3
	v_add_nc_u64_e32 v[6:7], v[10:11], v[4:5]
	s_branch .LBB4_155
.LBB4_152:                              ;   in Loop: Header=BB4_155 Depth=1
	s_wait_xcnt 0x0
	s_or_b32 exec_lo, exec_lo, s3
	s_delay_alu instid0(VALU_DEP_1)
	v_readfirstlane_b32 s3, v5
	s_cmp_eq_u32 s3, 0
	s_cbranch_scc1 .LBB4_154
; %bb.153:                              ;   in Loop: Header=BB4_155 Depth=1
	s_sleep 1
	s_cbranch_execnz .LBB4_155
	s_branch .LBB4_157
.LBB4_154:
	s_branch .LBB4_157
.LBB4_155:                              ; =>This Inner Loop Header: Depth=1
	v_mov_b32_e32 v5, 1
	s_and_saveexec_b32 s3, s2
	s_cbranch_execz .LBB4_152
; %bb.156:                              ;   in Loop: Header=BB4_155 Depth=1
	global_load_b32 v5, v[0:1], off offset:20 scope:SCOPE_SYS
	s_wait_loadcnt 0x0
	global_inv scope:SCOPE_SYS
	v_and_b32_e32 v5, 1, v5
	s_branch .LBB4_152
.LBB4_157:
	global_load_b64 v[6:7], v[6:7], off
	s_wait_xcnt 0x0
	s_and_saveexec_b32 s8, s2
	s_cbranch_execz .LBB4_161
; %bb.158:
	v_mov_b32_e32 v5, 0
	s_clause 0x2
	global_load_b64 v[0:1], v5, s[4:5] offset:40
	global_load_b64 v[12:13], v5, s[4:5] offset:24 scope:SCOPE_SYS
	global_load_b64 v[8:9], v5, s[4:5]
	s_wait_loadcnt 0x2
	v_readfirstlane_b32 s10, v0
	v_readfirstlane_b32 s11, v1
	s_add_nc_u64 s[2:3], s[10:11], 1
	s_delay_alu instid0(SALU_CYCLE_1) | instskip(NEXT) | instid1(SALU_CYCLE_1)
	s_add_nc_u64 s[6:7], s[2:3], s[6:7]
	s_cmp_eq_u64 s[6:7], 0
	s_cselect_b32 s3, s3, s7
	s_cselect_b32 s2, s2, s6
	v_mov_b32_e32 v11, s3
	s_and_b64 s[6:7], s[2:3], s[10:11]
	v_mov_b32_e32 v10, s2
	s_mul_u64 s[6:7], s[6:7], 24
	s_wait_loadcnt 0x0
	v_add_nc_u64_e32 v[0:1], s[6:7], v[8:9]
	global_store_b64 v[0:1], v[12:13], off
	global_wb scope:SCOPE_SYS
	s_wait_storecnt 0x0
	s_wait_xcnt 0x0
	global_atomic_cmpswap_b64 v[10:11], v5, v[10:13], s[4:5] offset:24 th:TH_ATOMIC_RETURN scope:SCOPE_SYS
	s_wait_loadcnt 0x0
	v_cmp_ne_u64_e32 vcc_lo, v[10:11], v[12:13]
	s_and_b32 exec_lo, exec_lo, vcc_lo
	s_cbranch_execz .LBB4_161
; %bb.159:
	s_mov_b32 s6, 0
.LBB4_160:                              ; =>This Inner Loop Header: Depth=1
	v_dual_mov_b32 v8, s2 :: v_dual_mov_b32 v9, s3
	s_sleep 1
	global_store_b64 v[0:1], v[10:11], off
	global_wb scope:SCOPE_SYS
	s_wait_storecnt 0x0
	s_wait_xcnt 0x0
	global_atomic_cmpswap_b64 v[8:9], v5, v[8:11], s[4:5] offset:24 th:TH_ATOMIC_RETURN scope:SCOPE_SYS
	s_wait_loadcnt 0x0
	v_cmp_eq_u64_e32 vcc_lo, v[8:9], v[10:11]
	v_mov_b64_e32 v[10:11], v[8:9]
	s_or_b32 s6, vcc_lo, s6
	s_delay_alu instid0(SALU_CYCLE_1)
	s_and_not1_b32 exec_lo, exec_lo, s6
	s_cbranch_execnz .LBB4_160
.LBB4_161:
	s_or_b32 exec_lo, exec_lo, s8
	s_get_pc_i64 s[6:7]
	s_add_nc_u64 s[6:7], s[6:7], .str.4@rel64+4
	s_delay_alu instid0(SALU_CYCLE_1)
	s_cmp_lg_u64 s[6:7], 0
	s_cbranch_scc0 .LBB4_240
; %bb.162:
	v_mov_b64_e32 v[14:15], 0x100000002
	s_wait_loadcnt 0x0
	v_dual_mov_b32 v13, 0 :: v_dual_bitop2_b32 v0, 2, v6 bitop3:0x40
	v_dual_mov_b32 v9, v7 :: v_dual_bitop2_b32 v8, -3, v6 bitop3:0x40
	s_mov_b64 s[8:9], 0x59
	s_branch .LBB4_164
.LBB4_163:                              ;   in Loop: Header=BB4_164 Depth=1
	s_or_b32 exec_lo, exec_lo, s14
	s_sub_nc_u64 s[8:9], s[8:9], s[10:11]
	s_add_nc_u64 s[6:7], s[6:7], s[10:11]
	s_cmp_lg_u64 s[8:9], 0
	s_cbranch_scc0 .LBB4_239
.LBB4_164:                              ; =>This Loop Header: Depth=1
                                        ;     Child Loop BB4_167 Depth 2
                                        ;     Child Loop BB4_174 Depth 2
	;; [unrolled: 1-line block ×11, first 2 shown]
	v_min_u64 v[10:11], s[8:9], 56
	v_cmp_gt_u64_e64 s2, s[8:9], 7
	s_and_b32 vcc_lo, exec_lo, s2
	v_readfirstlane_b32 s10, v10
	v_readfirstlane_b32 s11, v11
	s_cbranch_vccnz .LBB4_169
; %bb.165:                              ;   in Loop: Header=BB4_164 Depth=1
	v_mov_b64_e32 v[10:11], 0
	s_cmp_eq_u64 s[8:9], 0
	s_cbranch_scc1 .LBB4_168
; %bb.166:                              ;   in Loop: Header=BB4_164 Depth=1
	s_mov_b64 s[2:3], 0
	s_mov_b64 s[12:13], 0
.LBB4_167:                              ;   Parent Loop BB4_164 Depth=1
                                        ; =>  This Inner Loop Header: Depth=2
	s_wait_xcnt 0x0
	s_add_nc_u64 s[14:15], s[6:7], s[12:13]
	s_add_nc_u64 s[12:13], s[12:13], 1
	global_load_u8 v1, v13, s[14:15]
	s_cmp_lg_u32 s10, s12
	s_wait_loadcnt 0x0
	v_and_b32_e32 v12, 0xffff, v1
	s_delay_alu instid0(VALU_DEP_1) | instskip(SKIP_1) | instid1(VALU_DEP_1)
	v_lshlrev_b64_e32 v[16:17], s2, v[12:13]
	s_add_nc_u64 s[2:3], s[2:3], 8
	v_or_b32_e32 v10, v16, v10
	s_delay_alu instid0(VALU_DEP_2)
	v_or_b32_e32 v11, v17, v11
	s_cbranch_scc1 .LBB4_167
.LBB4_168:                              ;   in Loop: Header=BB4_164 Depth=1
	s_mov_b64 s[12:13], s[6:7]
	s_mov_b32 s19, 0
	s_cbranch_execz .LBB4_170
	s_branch .LBB4_171
.LBB4_169:                              ;   in Loop: Header=BB4_164 Depth=1
	s_add_nc_u64 s[12:13], s[6:7], 8
	s_mov_b32 s19, 0
.LBB4_170:                              ;   in Loop: Header=BB4_164 Depth=1
	global_load_b64 v[10:11], v13, s[6:7]
	s_add_co_i32 s19, s10, -8
.LBB4_171:                              ;   in Loop: Header=BB4_164 Depth=1
	s_delay_alu instid0(SALU_CYCLE_1)
	s_cmp_gt_u32 s19, 7
	s_cbranch_scc1 .LBB4_176
; %bb.172:                              ;   in Loop: Header=BB4_164 Depth=1
	v_mov_b64_e32 v[16:17], 0
	s_cmp_eq_u32 s19, 0
	s_cbranch_scc1 .LBB4_175
; %bb.173:                              ;   in Loop: Header=BB4_164 Depth=1
	s_mov_b64 s[2:3], 0
	s_wait_xcnt 0x0
	s_mov_b64 s[14:15], 0
.LBB4_174:                              ;   Parent Loop BB4_164 Depth=1
                                        ; =>  This Inner Loop Header: Depth=2
	s_wait_xcnt 0x0
	s_add_nc_u64 s[20:21], s[12:13], s[14:15]
	s_add_nc_u64 s[14:15], s[14:15], 1
	global_load_u8 v1, v13, s[20:21]
	s_cmp_lg_u32 s19, s14
	s_wait_loadcnt 0x0
	v_and_b32_e32 v12, 0xffff, v1
	s_delay_alu instid0(VALU_DEP_1) | instskip(SKIP_1) | instid1(VALU_DEP_1)
	v_lshlrev_b64_e32 v[18:19], s2, v[12:13]
	s_add_nc_u64 s[2:3], s[2:3], 8
	v_or_b32_e32 v16, v18, v16
	s_delay_alu instid0(VALU_DEP_2)
	v_or_b32_e32 v17, v19, v17
	s_cbranch_scc1 .LBB4_174
.LBB4_175:                              ;   in Loop: Header=BB4_164 Depth=1
	s_wait_xcnt 0x0
	s_mov_b64 s[2:3], s[12:13]
	s_mov_b32 s20, 0
	s_cbranch_execz .LBB4_177
	s_branch .LBB4_178
.LBB4_176:                              ;   in Loop: Header=BB4_164 Depth=1
	s_add_nc_u64 s[2:3], s[12:13], 8
	s_wait_xcnt 0x0
                                        ; implicit-def: $vgpr16_vgpr17
	s_mov_b32 s20, 0
.LBB4_177:                              ;   in Loop: Header=BB4_164 Depth=1
	global_load_b64 v[16:17], v13, s[12:13]
	s_add_co_i32 s20, s19, -8
.LBB4_178:                              ;   in Loop: Header=BB4_164 Depth=1
	s_delay_alu instid0(SALU_CYCLE_1)
	s_cmp_gt_u32 s20, 7
	s_cbranch_scc1 .LBB4_183
; %bb.179:                              ;   in Loop: Header=BB4_164 Depth=1
	v_mov_b64_e32 v[18:19], 0
	s_cmp_eq_u32 s20, 0
	s_cbranch_scc1 .LBB4_182
; %bb.180:                              ;   in Loop: Header=BB4_164 Depth=1
	s_wait_xcnt 0x0
	s_mov_b64 s[12:13], 0
	s_mov_b64 s[14:15], 0
.LBB4_181:                              ;   Parent Loop BB4_164 Depth=1
                                        ; =>  This Inner Loop Header: Depth=2
	s_wait_xcnt 0x0
	s_add_nc_u64 s[22:23], s[2:3], s[14:15]
	s_add_nc_u64 s[14:15], s[14:15], 1
	global_load_u8 v1, v13, s[22:23]
	s_cmp_lg_u32 s20, s14
	s_wait_loadcnt 0x0
	v_and_b32_e32 v12, 0xffff, v1
	s_delay_alu instid0(VALU_DEP_1) | instskip(SKIP_1) | instid1(VALU_DEP_1)
	v_lshlrev_b64_e32 v[20:21], s12, v[12:13]
	s_add_nc_u64 s[12:13], s[12:13], 8
	v_or_b32_e32 v18, v20, v18
	s_delay_alu instid0(VALU_DEP_2)
	v_or_b32_e32 v19, v21, v19
	s_cbranch_scc1 .LBB4_181
.LBB4_182:                              ;   in Loop: Header=BB4_164 Depth=1
	s_wait_xcnt 0x0
	s_mov_b64 s[12:13], s[2:3]
	s_mov_b32 s19, 0
	s_cbranch_execz .LBB4_184
	s_branch .LBB4_185
.LBB4_183:                              ;   in Loop: Header=BB4_164 Depth=1
	s_wait_xcnt 0x0
	s_add_nc_u64 s[12:13], s[2:3], 8
	s_mov_b32 s19, 0
.LBB4_184:                              ;   in Loop: Header=BB4_164 Depth=1
	global_load_b64 v[18:19], v13, s[2:3]
	s_add_co_i32 s19, s20, -8
.LBB4_185:                              ;   in Loop: Header=BB4_164 Depth=1
	s_delay_alu instid0(SALU_CYCLE_1)
	s_cmp_gt_u32 s19, 7
	s_cbranch_scc1 .LBB4_190
; %bb.186:                              ;   in Loop: Header=BB4_164 Depth=1
	v_mov_b64_e32 v[20:21], 0
	s_cmp_eq_u32 s19, 0
	s_cbranch_scc1 .LBB4_189
; %bb.187:                              ;   in Loop: Header=BB4_164 Depth=1
	s_wait_xcnt 0x0
	s_mov_b64 s[2:3], 0
	s_mov_b64 s[14:15], 0
.LBB4_188:                              ;   Parent Loop BB4_164 Depth=1
                                        ; =>  This Inner Loop Header: Depth=2
	s_wait_xcnt 0x0
	s_add_nc_u64 s[20:21], s[12:13], s[14:15]
	s_add_nc_u64 s[14:15], s[14:15], 1
	global_load_u8 v1, v13, s[20:21]
	s_cmp_lg_u32 s19, s14
	s_wait_loadcnt 0x0
	v_and_b32_e32 v12, 0xffff, v1
	s_delay_alu instid0(VALU_DEP_1) | instskip(SKIP_1) | instid1(VALU_DEP_1)
	v_lshlrev_b64_e32 v[22:23], s2, v[12:13]
	s_add_nc_u64 s[2:3], s[2:3], 8
	v_or_b32_e32 v20, v22, v20
	s_delay_alu instid0(VALU_DEP_2)
	v_or_b32_e32 v21, v23, v21
	s_cbranch_scc1 .LBB4_188
.LBB4_189:                              ;   in Loop: Header=BB4_164 Depth=1
	s_wait_xcnt 0x0
	s_mov_b64 s[2:3], s[12:13]
	s_mov_b32 s20, 0
	s_cbranch_execz .LBB4_191
	s_branch .LBB4_192
.LBB4_190:                              ;   in Loop: Header=BB4_164 Depth=1
	s_wait_xcnt 0x0
	s_add_nc_u64 s[2:3], s[12:13], 8
                                        ; implicit-def: $vgpr20_vgpr21
	s_mov_b32 s20, 0
.LBB4_191:                              ;   in Loop: Header=BB4_164 Depth=1
	global_load_b64 v[20:21], v13, s[12:13]
	s_add_co_i32 s20, s19, -8
.LBB4_192:                              ;   in Loop: Header=BB4_164 Depth=1
	s_delay_alu instid0(SALU_CYCLE_1)
	s_cmp_gt_u32 s20, 7
	s_cbranch_scc1 .LBB4_197
; %bb.193:                              ;   in Loop: Header=BB4_164 Depth=1
	v_mov_b64_e32 v[22:23], 0
	s_cmp_eq_u32 s20, 0
	s_cbranch_scc1 .LBB4_196
; %bb.194:                              ;   in Loop: Header=BB4_164 Depth=1
	s_wait_xcnt 0x0
	s_mov_b64 s[12:13], 0
	s_mov_b64 s[14:15], 0
.LBB4_195:                              ;   Parent Loop BB4_164 Depth=1
                                        ; =>  This Inner Loop Header: Depth=2
	s_wait_xcnt 0x0
	s_add_nc_u64 s[22:23], s[2:3], s[14:15]
	s_add_nc_u64 s[14:15], s[14:15], 1
	global_load_u8 v1, v13, s[22:23]
	s_cmp_lg_u32 s20, s14
	s_wait_loadcnt 0x0
	v_and_b32_e32 v12, 0xffff, v1
	s_delay_alu instid0(VALU_DEP_1) | instskip(SKIP_1) | instid1(VALU_DEP_1)
	v_lshlrev_b64_e32 v[24:25], s12, v[12:13]
	s_add_nc_u64 s[12:13], s[12:13], 8
	v_or_b32_e32 v22, v24, v22
	s_delay_alu instid0(VALU_DEP_2)
	v_or_b32_e32 v23, v25, v23
	s_cbranch_scc1 .LBB4_195
.LBB4_196:                              ;   in Loop: Header=BB4_164 Depth=1
	s_wait_xcnt 0x0
	s_mov_b64 s[12:13], s[2:3]
	s_mov_b32 s19, 0
	s_cbranch_execz .LBB4_198
	s_branch .LBB4_199
.LBB4_197:                              ;   in Loop: Header=BB4_164 Depth=1
	s_wait_xcnt 0x0
	s_add_nc_u64 s[12:13], s[2:3], 8
	s_mov_b32 s19, 0
.LBB4_198:                              ;   in Loop: Header=BB4_164 Depth=1
	global_load_b64 v[22:23], v13, s[2:3]
	s_add_co_i32 s19, s20, -8
.LBB4_199:                              ;   in Loop: Header=BB4_164 Depth=1
	s_delay_alu instid0(SALU_CYCLE_1)
	s_cmp_gt_u32 s19, 7
	s_cbranch_scc1 .LBB4_204
; %bb.200:                              ;   in Loop: Header=BB4_164 Depth=1
	v_mov_b64_e32 v[24:25], 0
	s_cmp_eq_u32 s19, 0
	s_cbranch_scc1 .LBB4_203
; %bb.201:                              ;   in Loop: Header=BB4_164 Depth=1
	s_wait_xcnt 0x0
	s_mov_b64 s[2:3], 0
	s_mov_b64 s[14:15], 0
.LBB4_202:                              ;   Parent Loop BB4_164 Depth=1
                                        ; =>  This Inner Loop Header: Depth=2
	s_wait_xcnt 0x0
	s_add_nc_u64 s[20:21], s[12:13], s[14:15]
	s_add_nc_u64 s[14:15], s[14:15], 1
	global_load_u8 v1, v13, s[20:21]
	s_cmp_lg_u32 s19, s14
	s_wait_loadcnt 0x0
	v_and_b32_e32 v12, 0xffff, v1
	s_delay_alu instid0(VALU_DEP_1) | instskip(SKIP_1) | instid1(VALU_DEP_1)
	v_lshlrev_b64_e32 v[26:27], s2, v[12:13]
	s_add_nc_u64 s[2:3], s[2:3], 8
	v_or_b32_e32 v24, v26, v24
	s_delay_alu instid0(VALU_DEP_2)
	v_or_b32_e32 v25, v27, v25
	s_cbranch_scc1 .LBB4_202
.LBB4_203:                              ;   in Loop: Header=BB4_164 Depth=1
	s_wait_xcnt 0x0
	s_mov_b64 s[2:3], s[12:13]
	s_mov_b32 s20, 0
	s_cbranch_execz .LBB4_205
	s_branch .LBB4_206
.LBB4_204:                              ;   in Loop: Header=BB4_164 Depth=1
	s_wait_xcnt 0x0
	s_add_nc_u64 s[2:3], s[12:13], 8
                                        ; implicit-def: $vgpr24_vgpr25
	s_mov_b32 s20, 0
.LBB4_205:                              ;   in Loop: Header=BB4_164 Depth=1
	global_load_b64 v[24:25], v13, s[12:13]
	s_add_co_i32 s20, s19, -8
.LBB4_206:                              ;   in Loop: Header=BB4_164 Depth=1
	s_delay_alu instid0(SALU_CYCLE_1)
	s_cmp_gt_u32 s20, 7
	s_cbranch_scc1 .LBB4_211
; %bb.207:                              ;   in Loop: Header=BB4_164 Depth=1
	v_mov_b64_e32 v[26:27], 0
	s_cmp_eq_u32 s20, 0
	s_cbranch_scc1 .LBB4_210
; %bb.208:                              ;   in Loop: Header=BB4_164 Depth=1
	s_wait_xcnt 0x0
	s_mov_b64 s[12:13], 0
	s_mov_b64 s[14:15], s[2:3]
.LBB4_209:                              ;   Parent Loop BB4_164 Depth=1
                                        ; =>  This Inner Loop Header: Depth=2
	global_load_u8 v1, v13, s[14:15]
	s_add_co_i32 s20, s20, -1
	s_wait_xcnt 0x0
	s_add_nc_u64 s[14:15], s[14:15], 1
	s_cmp_lg_u32 s20, 0
	s_wait_loadcnt 0x0
	v_and_b32_e32 v12, 0xffff, v1
	s_delay_alu instid0(VALU_DEP_1) | instskip(SKIP_1) | instid1(VALU_DEP_1)
	v_lshlrev_b64_e32 v[28:29], s12, v[12:13]
	s_add_nc_u64 s[12:13], s[12:13], 8
	v_or_b32_e32 v26, v28, v26
	s_delay_alu instid0(VALU_DEP_2)
	v_or_b32_e32 v27, v29, v27
	s_cbranch_scc1 .LBB4_209
.LBB4_210:                              ;   in Loop: Header=BB4_164 Depth=1
	s_wait_xcnt 0x0
	s_cbranch_execz .LBB4_212
	s_branch .LBB4_213
.LBB4_211:                              ;   in Loop: Header=BB4_164 Depth=1
	s_wait_xcnt 0x0
.LBB4_212:                              ;   in Loop: Header=BB4_164 Depth=1
	global_load_b64 v[26:27], v13, s[2:3]
.LBB4_213:                              ;   in Loop: Header=BB4_164 Depth=1
	s_wait_xcnt 0x0
	v_readfirstlane_b32 s2, v3
	v_mov_b64_e32 v[32:33], 0
	s_delay_alu instid0(VALU_DEP_2)
	v_cmp_eq_u32_e64 s2, s2, v3
	s_and_saveexec_b32 s3, s2
	s_cbranch_execz .LBB4_219
; %bb.214:                              ;   in Loop: Header=BB4_164 Depth=1
	global_load_b64 v[30:31], v13, s[4:5] offset:24 scope:SCOPE_SYS
	s_wait_loadcnt 0x0
	global_inv scope:SCOPE_SYS
	s_clause 0x1
	global_load_b64 v[28:29], v13, s[4:5] offset:40
	global_load_b64 v[32:33], v13, s[4:5]
	s_mov_b32 s12, exec_lo
	s_wait_loadcnt 0x1
	v_and_b32_e32 v28, v28, v30
	v_and_b32_e32 v29, v29, v31
	s_delay_alu instid0(VALU_DEP_1) | instskip(SKIP_1) | instid1(VALU_DEP_1)
	v_mul_u64_e32 v[28:29], 24, v[28:29]
	s_wait_loadcnt 0x0
	v_add_nc_u64_e32 v[28:29], v[32:33], v[28:29]
	global_load_b64 v[28:29], v[28:29], off scope:SCOPE_SYS
	s_wait_xcnt 0x0
	s_wait_loadcnt 0x0
	global_atomic_cmpswap_b64 v[32:33], v13, v[28:31], s[4:5] offset:24 th:TH_ATOMIC_RETURN scope:SCOPE_SYS
	s_wait_loadcnt 0x0
	global_inv scope:SCOPE_SYS
	s_wait_xcnt 0x0
	v_cmpx_ne_u64_e64 v[32:33], v[30:31]
	s_cbranch_execz .LBB4_218
; %bb.215:                              ;   in Loop: Header=BB4_164 Depth=1
	s_mov_b32 s13, 0
.LBB4_216:                              ;   Parent Loop BB4_164 Depth=1
                                        ; =>  This Inner Loop Header: Depth=2
	s_sleep 1
	s_clause 0x1
	global_load_b64 v[28:29], v13, s[4:5] offset:40
	global_load_b64 v[34:35], v13, s[4:5]
	v_mov_b64_e32 v[30:31], v[32:33]
	s_wait_loadcnt 0x1
	s_delay_alu instid0(VALU_DEP_1) | instskip(SKIP_1) | instid1(VALU_DEP_1)
	v_and_b32_e32 v1, v28, v30
	s_wait_loadcnt 0x0
	v_mad_nc_u64_u32 v[32:33], v1, 24, v[34:35]
	s_delay_alu instid0(VALU_DEP_3) | instskip(NEXT) | instid1(VALU_DEP_1)
	v_and_b32_e32 v1, v29, v31
	v_mad_u32 v33, v1, 24, v33
	global_load_b64 v[28:29], v[32:33], off scope:SCOPE_SYS
	s_wait_xcnt 0x0
	s_wait_loadcnt 0x0
	global_atomic_cmpswap_b64 v[32:33], v13, v[28:31], s[4:5] offset:24 th:TH_ATOMIC_RETURN scope:SCOPE_SYS
	s_wait_loadcnt 0x0
	global_inv scope:SCOPE_SYS
	v_cmp_eq_u64_e32 vcc_lo, v[32:33], v[30:31]
	s_or_b32 s13, vcc_lo, s13
	s_wait_xcnt 0x0
	s_and_not1_b32 exec_lo, exec_lo, s13
	s_cbranch_execnz .LBB4_216
; %bb.217:                              ;   in Loop: Header=BB4_164 Depth=1
	s_or_b32 exec_lo, exec_lo, s13
.LBB4_218:                              ;   in Loop: Header=BB4_164 Depth=1
	s_delay_alu instid0(SALU_CYCLE_1)
	s_or_b32 exec_lo, exec_lo, s12
.LBB4_219:                              ;   in Loop: Header=BB4_164 Depth=1
	s_delay_alu instid0(SALU_CYCLE_1)
	s_or_b32 exec_lo, exec_lo, s3
	s_clause 0x1
	global_load_b64 v[34:35], v13, s[4:5] offset:40
	global_load_b128 v[28:31], v13, s[4:5]
	v_readfirstlane_b32 s12, v32
	v_readfirstlane_b32 s13, v33
	s_mov_b32 s3, exec_lo
	s_wait_loadcnt 0x1
	v_and_b32_e32 v34, s12, v34
	v_and_b32_e32 v35, s13, v35
	s_delay_alu instid0(VALU_DEP_1) | instskip(SKIP_1) | instid1(VALU_DEP_1)
	v_mul_u64_e32 v[32:33], 24, v[34:35]
	s_wait_loadcnt 0x0
	v_add_nc_u64_e32 v[32:33], v[28:29], v[32:33]
	s_wait_xcnt 0x0
	s_and_saveexec_b32 s14, s2
	s_cbranch_execz .LBB4_221
; %bb.220:                              ;   in Loop: Header=BB4_164 Depth=1
	v_mov_b32_e32 v12, s3
	global_store_b128 v[32:33], v[12:15], off offset:8
.LBB4_221:                              ;   in Loop: Header=BB4_164 Depth=1
	s_wait_xcnt 0x0
	s_or_b32 exec_lo, exec_lo, s14
	v_cmp_lt_u64_e64 vcc_lo, s[8:9], 57
	v_lshlrev_b64_e32 v[34:35], 12, v[34:35]
	v_and_b32_e32 v5, 0xffffff1f, v8
	s_lshl_b32 s3, s10, 2
	s_delay_alu instid0(SALU_CYCLE_1) | instskip(SKIP_1) | instid1(VALU_DEP_3)
	s_add_co_i32 s3, s3, 28
	v_cndmask_b32_e32 v1, 0, v0, vcc_lo
	v_add_nc_u64_e32 v[30:31], v[30:31], v[34:35]
	s_delay_alu instid0(VALU_DEP_2) | instskip(NEXT) | instid1(VALU_DEP_2)
	v_or_b32_e32 v1, v5, v1
	v_readfirstlane_b32 s14, v30
	s_delay_alu instid0(VALU_DEP_3) | instskip(NEXT) | instid1(VALU_DEP_3)
	v_readfirstlane_b32 s15, v31
	v_and_or_b32 v8, 0x1e0, s3, v1
	s_clause 0x3
	global_store_b128 v4, v[8:11], s[14:15]
	global_store_b128 v4, v[16:19], s[14:15] offset:16
	global_store_b128 v4, v[20:23], s[14:15] offset:32
	;; [unrolled: 1-line block ×3, first 2 shown]
	s_wait_xcnt 0x0
	s_and_saveexec_b32 s3, s2
	s_cbranch_execz .LBB4_229
; %bb.222:                              ;   in Loop: Header=BB4_164 Depth=1
	s_clause 0x1
	global_load_b64 v[20:21], v13, s[4:5] offset:32 scope:SCOPE_SYS
	global_load_b64 v[8:9], v13, s[4:5] offset:40
	s_mov_b32 s14, exec_lo
	v_dual_mov_b32 v18, s12 :: v_dual_mov_b32 v19, s13
	s_wait_loadcnt 0x0
	v_and_b32_e32 v9, s13, v9
	v_and_b32_e32 v8, s12, v8
	s_delay_alu instid0(VALU_DEP_1) | instskip(NEXT) | instid1(VALU_DEP_1)
	v_mul_u64_e32 v[8:9], 24, v[8:9]
	v_add_nc_u64_e32 v[16:17], v[28:29], v[8:9]
	global_store_b64 v[16:17], v[20:21], off
	global_wb scope:SCOPE_SYS
	s_wait_storecnt 0x0
	s_wait_xcnt 0x0
	global_atomic_cmpswap_b64 v[10:11], v13, v[18:21], s[4:5] offset:32 th:TH_ATOMIC_RETURN scope:SCOPE_SYS
	s_wait_loadcnt 0x0
	v_cmpx_ne_u64_e64 v[10:11], v[20:21]
	s_cbranch_execz .LBB4_225
; %bb.223:                              ;   in Loop: Header=BB4_164 Depth=1
	s_mov_b32 s15, 0
.LBB4_224:                              ;   Parent Loop BB4_164 Depth=1
                                        ; =>  This Inner Loop Header: Depth=2
	v_dual_mov_b32 v8, s12 :: v_dual_mov_b32 v9, s13
	s_sleep 1
	global_store_b64 v[16:17], v[10:11], off
	global_wb scope:SCOPE_SYS
	s_wait_storecnt 0x0
	s_wait_xcnt 0x0
	global_atomic_cmpswap_b64 v[8:9], v13, v[8:11], s[4:5] offset:32 th:TH_ATOMIC_RETURN scope:SCOPE_SYS
	s_wait_loadcnt 0x0
	v_cmp_eq_u64_e32 vcc_lo, v[8:9], v[10:11]
	v_mov_b64_e32 v[10:11], v[8:9]
	s_or_b32 s15, vcc_lo, s15
	s_delay_alu instid0(SALU_CYCLE_1)
	s_and_not1_b32 exec_lo, exec_lo, s15
	s_cbranch_execnz .LBB4_224
.LBB4_225:                              ;   in Loop: Header=BB4_164 Depth=1
	s_or_b32 exec_lo, exec_lo, s14
	global_load_b64 v[8:9], v13, s[4:5] offset:16
	s_mov_b32 s15, exec_lo
	s_mov_b32 s14, exec_lo
	v_mbcnt_lo_u32_b32 v1, s15, 0
	s_wait_xcnt 0x0
	s_delay_alu instid0(VALU_DEP_1)
	v_cmpx_eq_u32_e32 0, v1
	s_cbranch_execz .LBB4_227
; %bb.226:                              ;   in Loop: Header=BB4_164 Depth=1
	s_bcnt1_i32_b32 s15, s15
	s_delay_alu instid0(SALU_CYCLE_1)
	v_mov_b32_e32 v12, s15
	global_wb scope:SCOPE_SYS
	s_wait_loadcnt 0x0
	s_wait_storecnt 0x0
	global_atomic_add_u64 v[8:9], v[12:13], off offset:8 scope:SCOPE_SYS
.LBB4_227:                              ;   in Loop: Header=BB4_164 Depth=1
	s_wait_xcnt 0x0
	s_or_b32 exec_lo, exec_lo, s14
	s_wait_loadcnt 0x0
	global_load_b64 v[10:11], v[8:9], off offset:16
	s_wait_loadcnt 0x0
	v_cmp_eq_u64_e32 vcc_lo, 0, v[10:11]
	s_cbranch_vccnz .LBB4_229
; %bb.228:                              ;   in Loop: Header=BB4_164 Depth=1
	global_load_b32 v12, v[8:9], off offset:24
	s_wait_loadcnt 0x0
	v_readfirstlane_b32 s14, v12
	global_wb scope:SCOPE_SYS
	s_wait_storecnt 0x0
	s_wait_xcnt 0x0
	global_store_b64 v[10:11], v[12:13], off scope:SCOPE_SYS
	s_and_b32 m0, s14, 0xffffff
	s_sendmsg sendmsg(MSG_INTERRUPT)
.LBB4_229:                              ;   in Loop: Header=BB4_164 Depth=1
	s_wait_xcnt 0x0
	s_or_b32 exec_lo, exec_lo, s3
	v_mov_b32_e32 v5, v13
	s_delay_alu instid0(VALU_DEP_1)
	v_add_nc_u64_e32 v[8:9], v[30:31], v[4:5]
	s_branch .LBB4_233
.LBB4_230:                              ;   in Loop: Header=BB4_233 Depth=2
	s_wait_xcnt 0x0
	s_or_b32 exec_lo, exec_lo, s3
	s_delay_alu instid0(VALU_DEP_1)
	v_readfirstlane_b32 s3, v1
	s_cmp_eq_u32 s3, 0
	s_cbranch_scc1 .LBB4_232
; %bb.231:                              ;   in Loop: Header=BB4_233 Depth=2
	s_sleep 1
	s_cbranch_execnz .LBB4_233
	s_branch .LBB4_235
.LBB4_232:                              ;   in Loop: Header=BB4_164 Depth=1
	s_branch .LBB4_235
.LBB4_233:                              ;   Parent Loop BB4_164 Depth=1
                                        ; =>  This Inner Loop Header: Depth=2
	v_mov_b32_e32 v1, 1
	s_and_saveexec_b32 s3, s2
	s_cbranch_execz .LBB4_230
; %bb.234:                              ;   in Loop: Header=BB4_233 Depth=2
	global_load_b32 v1, v[32:33], off offset:20 scope:SCOPE_SYS
	s_wait_loadcnt 0x0
	global_inv scope:SCOPE_SYS
	v_and_b32_e32 v1, 1, v1
	s_branch .LBB4_230
.LBB4_235:                              ;   in Loop: Header=BB4_164 Depth=1
	global_load_b64 v[8:9], v[8:9], off
	s_wait_xcnt 0x0
	s_and_saveexec_b32 s14, s2
	s_cbranch_execz .LBB4_163
; %bb.236:                              ;   in Loop: Header=BB4_164 Depth=1
	s_clause 0x2
	global_load_b64 v[10:11], v13, s[4:5] offset:40
	global_load_b64 v[20:21], v13, s[4:5] offset:24 scope:SCOPE_SYS
	global_load_b64 v[16:17], v13, s[4:5]
	s_wait_loadcnt 0x2
	v_readfirstlane_b32 s20, v10
	v_readfirstlane_b32 s21, v11
	s_add_nc_u64 s[2:3], s[20:21], 1
	s_delay_alu instid0(SALU_CYCLE_1) | instskip(NEXT) | instid1(SALU_CYCLE_1)
	s_add_nc_u64 s[12:13], s[2:3], s[12:13]
	s_cmp_eq_u64 s[12:13], 0
	s_cselect_b32 s3, s3, s13
	s_cselect_b32 s2, s2, s12
	s_delay_alu instid0(SALU_CYCLE_1) | instskip(SKIP_1) | instid1(SALU_CYCLE_1)
	v_dual_mov_b32 v19, s3 :: v_dual_mov_b32 v18, s2
	s_and_b64 s[12:13], s[2:3], s[20:21]
	s_mul_u64 s[12:13], s[12:13], 24
	s_wait_loadcnt 0x0
	v_add_nc_u64_e32 v[10:11], s[12:13], v[16:17]
	global_store_b64 v[10:11], v[20:21], off
	global_wb scope:SCOPE_SYS
	s_wait_storecnt 0x0
	s_wait_xcnt 0x0
	global_atomic_cmpswap_b64 v[18:19], v13, v[18:21], s[4:5] offset:24 th:TH_ATOMIC_RETURN scope:SCOPE_SYS
	s_wait_loadcnt 0x0
	v_cmp_ne_u64_e32 vcc_lo, v[18:19], v[20:21]
	s_and_b32 exec_lo, exec_lo, vcc_lo
	s_cbranch_execz .LBB4_163
; %bb.237:                              ;   in Loop: Header=BB4_164 Depth=1
	s_mov_b32 s12, 0
.LBB4_238:                              ;   Parent Loop BB4_164 Depth=1
                                        ; =>  This Inner Loop Header: Depth=2
	v_dual_mov_b32 v16, s2 :: v_dual_mov_b32 v17, s3
	s_sleep 1
	global_store_b64 v[10:11], v[18:19], off
	global_wb scope:SCOPE_SYS
	s_wait_storecnt 0x0
	s_wait_xcnt 0x0
	global_atomic_cmpswap_b64 v[16:17], v13, v[16:19], s[4:5] offset:24 th:TH_ATOMIC_RETURN scope:SCOPE_SYS
	s_wait_loadcnt 0x0
	v_cmp_eq_u64_e32 vcc_lo, v[16:17], v[18:19]
	v_mov_b64_e32 v[18:19], v[16:17]
	s_or_b32 s12, vcc_lo, s12
	s_delay_alu instid0(SALU_CYCLE_1)
	s_and_not1_b32 exec_lo, exec_lo, s12
	s_cbranch_execnz .LBB4_238
	s_branch .LBB4_163
.LBB4_239:
	s_branch .LBB4_268
.LBB4_240:
                                        ; implicit-def: $vgpr8_vgpr9
	s_cbranch_execz .LBB4_268
; %bb.241:
	v_readfirstlane_b32 s2, v3
	v_mov_b64_e32 v[0:1], 0
	s_delay_alu instid0(VALU_DEP_2)
	v_cmp_eq_u32_e64 s2, s2, v3
	s_and_saveexec_b32 s3, s2
	s_cbranch_execz .LBB4_247
; %bb.242:
	v_mov_b32_e32 v5, 0
	s_mov_b32 s6, exec_lo
	global_load_b64 v[10:11], v5, s[4:5] offset:24 scope:SCOPE_SYS
	s_wait_loadcnt 0x0
	global_inv scope:SCOPE_SYS
	s_clause 0x1
	global_load_b64 v[0:1], v5, s[4:5] offset:40
	global_load_b64 v[8:9], v5, s[4:5]
	s_wait_loadcnt 0x1
	v_and_b32_e32 v0, v0, v10
	v_and_b32_e32 v1, v1, v11
	s_delay_alu instid0(VALU_DEP_1) | instskip(SKIP_1) | instid1(VALU_DEP_1)
	v_mul_u64_e32 v[0:1], 24, v[0:1]
	s_wait_loadcnt 0x0
	v_add_nc_u64_e32 v[0:1], v[8:9], v[0:1]
	global_load_b64 v[8:9], v[0:1], off scope:SCOPE_SYS
	s_wait_xcnt 0x0
	s_wait_loadcnt 0x0
	global_atomic_cmpswap_b64 v[0:1], v5, v[8:11], s[4:5] offset:24 th:TH_ATOMIC_RETURN scope:SCOPE_SYS
	s_wait_loadcnt 0x0
	global_inv scope:SCOPE_SYS
	s_wait_xcnt 0x0
	v_cmpx_ne_u64_e64 v[0:1], v[10:11]
	s_cbranch_execz .LBB4_246
; %bb.243:
	s_mov_b32 s7, 0
.LBB4_244:                              ; =>This Inner Loop Header: Depth=1
	s_sleep 1
	s_clause 0x1
	global_load_b64 v[8:9], v5, s[4:5] offset:40
	global_load_b64 v[12:13], v5, s[4:5]
	v_mov_b64_e32 v[10:11], v[0:1]
	s_wait_loadcnt 0x1
	s_delay_alu instid0(VALU_DEP_1) | instskip(NEXT) | instid1(VALU_DEP_2)
	v_and_b32_e32 v0, v8, v10
	v_and_b32_e32 v8, v9, v11
	s_wait_loadcnt 0x0
	s_delay_alu instid0(VALU_DEP_2) | instskip(NEXT) | instid1(VALU_DEP_1)
	v_mad_nc_u64_u32 v[0:1], v0, 24, v[12:13]
	v_mad_u32 v1, v8, 24, v1
	global_load_b64 v[8:9], v[0:1], off scope:SCOPE_SYS
	s_wait_xcnt 0x0
	s_wait_loadcnt 0x0
	global_atomic_cmpswap_b64 v[0:1], v5, v[8:11], s[4:5] offset:24 th:TH_ATOMIC_RETURN scope:SCOPE_SYS
	s_wait_loadcnt 0x0
	global_inv scope:SCOPE_SYS
	v_cmp_eq_u64_e32 vcc_lo, v[0:1], v[10:11]
	s_or_b32 s7, vcc_lo, s7
	s_wait_xcnt 0x0
	s_and_not1_b32 exec_lo, exec_lo, s7
	s_cbranch_execnz .LBB4_244
; %bb.245:
	s_or_b32 exec_lo, exec_lo, s7
.LBB4_246:
	s_delay_alu instid0(SALU_CYCLE_1)
	s_or_b32 exec_lo, exec_lo, s6
.LBB4_247:
	s_delay_alu instid0(SALU_CYCLE_1)
	s_or_b32 exec_lo, exec_lo, s3
	v_readfirstlane_b32 s6, v0
	v_mov_b32_e32 v5, 0
	v_readfirstlane_b32 s7, v1
	s_mov_b32 s3, exec_lo
	s_wait_loadcnt 0x0
	s_clause 0x1
	global_load_b64 v[8:9], v5, s[4:5] offset:40
	global_load_b128 v[10:13], v5, s[4:5]
	s_wait_loadcnt 0x1
	v_and_b32_e32 v8, s6, v8
	v_and_b32_e32 v9, s7, v9
	s_delay_alu instid0(VALU_DEP_1) | instskip(SKIP_1) | instid1(VALU_DEP_1)
	v_mul_u64_e32 v[0:1], 24, v[8:9]
	s_wait_loadcnt 0x0
	v_add_nc_u64_e32 v[0:1], v[10:11], v[0:1]
	s_wait_xcnt 0x0
	s_and_saveexec_b32 s8, s2
	s_cbranch_execz .LBB4_249
; %bb.248:
	v_mov_b64_e32 v[16:17], 0x100000002
	v_dual_mov_b32 v14, s3 :: v_dual_mov_b32 v15, v5
	global_store_b128 v[0:1], v[14:17], off offset:8
.LBB4_249:
	s_wait_xcnt 0x0
	s_or_b32 exec_lo, exec_lo, s8
	v_lshlrev_b64_e32 v[8:9], 12, v[8:9]
	s_mov_b32 s8, 0
	v_and_or_b32 v6, 0xffffff1f, v6, 32
	s_mov_b32 s10, s8
	s_mov_b32 s11, s8
	;; [unrolled: 1-line block ×3, first 2 shown]
	v_mov_b64_e32 v[16:17], s[10:11]
	v_add_nc_u64_e32 v[12:13], v[12:13], v[8:9]
	v_mov_b64_e32 v[14:15], s[8:9]
	v_dual_mov_b32 v8, v5 :: v_dual_mov_b32 v9, v5
	s_delay_alu instid0(VALU_DEP_3) | instskip(NEXT) | instid1(VALU_DEP_4)
	v_readfirstlane_b32 s12, v12
	v_readfirstlane_b32 s13, v13
	s_clause 0x3
	global_store_b128 v4, v[6:9], s[12:13]
	global_store_b128 v4, v[14:17], s[12:13] offset:16
	global_store_b128 v4, v[14:17], s[12:13] offset:32
	;; [unrolled: 1-line block ×3, first 2 shown]
	s_wait_xcnt 0x0
	s_and_saveexec_b32 s3, s2
	s_cbranch_execz .LBB4_257
; %bb.250:
	v_dual_mov_b32 v14, 0 :: v_dual_mov_b32 v17, s7
	s_mov_b32 s8, exec_lo
	s_clause 0x1
	global_load_b64 v[18:19], v14, s[4:5] offset:32 scope:SCOPE_SYS
	global_load_b64 v[6:7], v14, s[4:5] offset:40
	s_wait_loadcnt 0x0
	v_dual_mov_b32 v16, s6 :: v_dual_bitop2_b32 v7, s7, v7 bitop3:0x40
	v_and_b32_e32 v6, s6, v6
	s_delay_alu instid0(VALU_DEP_1) | instskip(NEXT) | instid1(VALU_DEP_1)
	v_mul_u64_e32 v[6:7], 24, v[6:7]
	v_add_nc_u64_e32 v[10:11], v[10:11], v[6:7]
	global_store_b64 v[10:11], v[18:19], off
	global_wb scope:SCOPE_SYS
	s_wait_storecnt 0x0
	s_wait_xcnt 0x0
	global_atomic_cmpswap_b64 v[8:9], v14, v[16:19], s[4:5] offset:32 th:TH_ATOMIC_RETURN scope:SCOPE_SYS
	s_wait_loadcnt 0x0
	v_cmpx_ne_u64_e64 v[8:9], v[18:19]
	s_cbranch_execz .LBB4_253
; %bb.251:
	s_mov_b32 s9, 0
.LBB4_252:                              ; =>This Inner Loop Header: Depth=1
	v_dual_mov_b32 v6, s6 :: v_dual_mov_b32 v7, s7
	s_sleep 1
	global_store_b64 v[10:11], v[8:9], off
	global_wb scope:SCOPE_SYS
	s_wait_storecnt 0x0
	s_wait_xcnt 0x0
	global_atomic_cmpswap_b64 v[6:7], v14, v[6:9], s[4:5] offset:32 th:TH_ATOMIC_RETURN scope:SCOPE_SYS
	s_wait_loadcnt 0x0
	v_cmp_eq_u64_e32 vcc_lo, v[6:7], v[8:9]
	v_mov_b64_e32 v[8:9], v[6:7]
	s_or_b32 s9, vcc_lo, s9
	s_delay_alu instid0(SALU_CYCLE_1)
	s_and_not1_b32 exec_lo, exec_lo, s9
	s_cbranch_execnz .LBB4_252
.LBB4_253:
	s_or_b32 exec_lo, exec_lo, s8
	v_mov_b32_e32 v9, 0
	s_mov_b32 s9, exec_lo
	s_mov_b32 s8, exec_lo
	v_mbcnt_lo_u32_b32 v8, s9, 0
	global_load_b64 v[6:7], v9, s[4:5] offset:16
	s_wait_xcnt 0x0
	v_cmpx_eq_u32_e32 0, v8
	s_cbranch_execz .LBB4_255
; %bb.254:
	s_bcnt1_i32_b32 s9, s9
	s_delay_alu instid0(SALU_CYCLE_1)
	v_mov_b32_e32 v8, s9
	global_wb scope:SCOPE_SYS
	s_wait_loadcnt 0x0
	s_wait_storecnt 0x0
	global_atomic_add_u64 v[6:7], v[8:9], off offset:8 scope:SCOPE_SYS
.LBB4_255:
	s_wait_xcnt 0x0
	s_or_b32 exec_lo, exec_lo, s8
	s_wait_loadcnt 0x0
	global_load_b64 v[8:9], v[6:7], off offset:16
	s_wait_loadcnt 0x0
	v_cmp_eq_u64_e32 vcc_lo, 0, v[8:9]
	s_cbranch_vccnz .LBB4_257
; %bb.256:
	global_load_b32 v6, v[6:7], off offset:24
	s_wait_xcnt 0x0
	v_mov_b32_e32 v7, 0
	s_wait_loadcnt 0x0
	v_readfirstlane_b32 s8, v6
	global_wb scope:SCOPE_SYS
	s_wait_storecnt 0x0
	global_store_b64 v[8:9], v[6:7], off scope:SCOPE_SYS
	s_and_b32 m0, s8, 0xffffff
	s_sendmsg sendmsg(MSG_INTERRUPT)
.LBB4_257:
	s_wait_xcnt 0x0
	s_or_b32 exec_lo, exec_lo, s3
	v_add_nc_u64_e32 v[6:7], v[12:13], v[4:5]
	s_branch .LBB4_261
.LBB4_258:                              ;   in Loop: Header=BB4_261 Depth=1
	s_wait_xcnt 0x0
	s_or_b32 exec_lo, exec_lo, s3
	s_delay_alu instid0(VALU_DEP_1)
	v_readfirstlane_b32 s3, v5
	s_cmp_eq_u32 s3, 0
	s_cbranch_scc1 .LBB4_260
; %bb.259:                              ;   in Loop: Header=BB4_261 Depth=1
	s_sleep 1
	s_cbranch_execnz .LBB4_261
	s_branch .LBB4_263
.LBB4_260:
	s_branch .LBB4_263
.LBB4_261:                              ; =>This Inner Loop Header: Depth=1
	v_mov_b32_e32 v5, 1
	s_and_saveexec_b32 s3, s2
	s_cbranch_execz .LBB4_258
; %bb.262:                              ;   in Loop: Header=BB4_261 Depth=1
	global_load_b32 v5, v[0:1], off offset:20 scope:SCOPE_SYS
	s_wait_loadcnt 0x0
	global_inv scope:SCOPE_SYS
	v_and_b32_e32 v5, 1, v5
	s_branch .LBB4_258
.LBB4_263:
	global_load_b64 v[8:9], v[6:7], off
	s_wait_xcnt 0x0
	s_and_saveexec_b32 s8, s2
	s_cbranch_execz .LBB4_267
; %bb.264:
	v_mov_b32_e32 v5, 0
	s_clause 0x2
	global_load_b64 v[0:1], v5, s[4:5] offset:40
	global_load_b64 v[14:15], v5, s[4:5] offset:24 scope:SCOPE_SYS
	global_load_b64 v[6:7], v5, s[4:5]
	s_wait_loadcnt 0x2
	v_readfirstlane_b32 s10, v0
	v_readfirstlane_b32 s11, v1
	s_add_nc_u64 s[2:3], s[10:11], 1
	s_delay_alu instid0(SALU_CYCLE_1) | instskip(NEXT) | instid1(SALU_CYCLE_1)
	s_add_nc_u64 s[6:7], s[2:3], s[6:7]
	s_cmp_eq_u64 s[6:7], 0
	s_cselect_b32 s3, s3, s7
	s_cselect_b32 s2, s2, s6
	v_mov_b32_e32 v13, s3
	s_and_b64 s[6:7], s[2:3], s[10:11]
	v_mov_b32_e32 v12, s2
	s_mul_u64 s[6:7], s[6:7], 24
	s_wait_loadcnt 0x0
	v_add_nc_u64_e32 v[0:1], s[6:7], v[6:7]
	global_store_b64 v[0:1], v[14:15], off
	global_wb scope:SCOPE_SYS
	s_wait_storecnt 0x0
	s_wait_xcnt 0x0
	global_atomic_cmpswap_b64 v[12:13], v5, v[12:15], s[4:5] offset:24 th:TH_ATOMIC_RETURN scope:SCOPE_SYS
	s_wait_loadcnt 0x0
	v_cmp_ne_u64_e32 vcc_lo, v[12:13], v[14:15]
	s_and_b32 exec_lo, exec_lo, vcc_lo
	s_cbranch_execz .LBB4_267
; %bb.265:
	s_mov_b32 s6, 0
.LBB4_266:                              ; =>This Inner Loop Header: Depth=1
	v_dual_mov_b32 v10, s2 :: v_dual_mov_b32 v11, s3
	s_sleep 1
	global_store_b64 v[0:1], v[12:13], off
	global_wb scope:SCOPE_SYS
	s_wait_storecnt 0x0
	s_wait_xcnt 0x0
	global_atomic_cmpswap_b64 v[6:7], v5, v[10:13], s[4:5] offset:24 th:TH_ATOMIC_RETURN scope:SCOPE_SYS
	s_wait_loadcnt 0x0
	v_cmp_eq_u64_e32 vcc_lo, v[6:7], v[12:13]
	v_mov_b64_e32 v[12:13], v[6:7]
	s_or_b32 s6, vcc_lo, s6
	s_delay_alu instid0(SALU_CYCLE_1)
	s_and_not1_b32 exec_lo, exec_lo, s6
	s_cbranch_execnz .LBB4_266
.LBB4_267:
	s_or_b32 exec_lo, exec_lo, s8
.LBB4_268:
	v_readfirstlane_b32 s2, v3
	v_mov_b64_e32 v[0:1], 0
	s_delay_alu instid0(VALU_DEP_2)
	v_cmp_eq_u32_e64 s2, s2, v3
	s_and_saveexec_b32 s3, s2
	s_cbranch_execz .LBB4_274
; %bb.269:
	v_mov_b32_e32 v5, 0
	s_mov_b32 s6, exec_lo
	global_load_b64 v[12:13], v5, s[4:5] offset:24 scope:SCOPE_SYS
	s_wait_loadcnt 0x0
	global_inv scope:SCOPE_SYS
	s_clause 0x1
	global_load_b64 v[0:1], v5, s[4:5] offset:40
	global_load_b64 v[6:7], v5, s[4:5]
	s_wait_loadcnt 0x1
	v_and_b32_e32 v0, v0, v12
	v_and_b32_e32 v1, v1, v13
	s_delay_alu instid0(VALU_DEP_1) | instskip(SKIP_1) | instid1(VALU_DEP_1)
	v_mul_u64_e32 v[0:1], 24, v[0:1]
	s_wait_loadcnt 0x0
	v_add_nc_u64_e32 v[0:1], v[6:7], v[0:1]
	global_load_b64 v[10:11], v[0:1], off scope:SCOPE_SYS
	s_wait_xcnt 0x0
	s_wait_loadcnt 0x0
	global_atomic_cmpswap_b64 v[0:1], v5, v[10:13], s[4:5] offset:24 th:TH_ATOMIC_RETURN scope:SCOPE_SYS
	s_wait_loadcnt 0x0
	global_inv scope:SCOPE_SYS
	s_wait_xcnt 0x0
	v_cmpx_ne_u64_e64 v[0:1], v[12:13]
	s_cbranch_execz .LBB4_273
; %bb.270:
	s_mov_b32 s7, 0
.LBB4_271:                              ; =>This Inner Loop Header: Depth=1
	s_sleep 1
	s_clause 0x1
	global_load_b64 v[6:7], v5, s[4:5] offset:40
	global_load_b64 v[10:11], v5, s[4:5]
	v_mov_b64_e32 v[12:13], v[0:1]
	s_wait_loadcnt 0x1
	s_delay_alu instid0(VALU_DEP_1) | instskip(NEXT) | instid1(VALU_DEP_2)
	v_and_b32_e32 v0, v6, v12
	v_and_b32_e32 v6, v7, v13
	s_wait_loadcnt 0x0
	s_delay_alu instid0(VALU_DEP_2) | instskip(NEXT) | instid1(VALU_DEP_1)
	v_mad_nc_u64_u32 v[0:1], v0, 24, v[10:11]
	v_mad_u32 v1, v6, 24, v1
	global_load_b64 v[10:11], v[0:1], off scope:SCOPE_SYS
	s_wait_xcnt 0x0
	s_wait_loadcnt 0x0
	global_atomic_cmpswap_b64 v[0:1], v5, v[10:13], s[4:5] offset:24 th:TH_ATOMIC_RETURN scope:SCOPE_SYS
	s_wait_loadcnt 0x0
	global_inv scope:SCOPE_SYS
	v_cmp_eq_u64_e32 vcc_lo, v[0:1], v[12:13]
	s_or_b32 s7, vcc_lo, s7
	s_wait_xcnt 0x0
	s_and_not1_b32 exec_lo, exec_lo, s7
	s_cbranch_execnz .LBB4_271
; %bb.272:
	s_or_b32 exec_lo, exec_lo, s7
.LBB4_273:
	s_delay_alu instid0(SALU_CYCLE_1)
	s_or_b32 exec_lo, exec_lo, s6
.LBB4_274:
	s_delay_alu instid0(SALU_CYCLE_1)
	s_or_b32 exec_lo, exec_lo, s3
	v_readfirstlane_b32 s6, v0
	v_mov_b32_e32 v5, 0
	v_readfirstlane_b32 s7, v1
	s_mov_b32 s3, exec_lo
	s_wait_loadcnt 0x0
	s_clause 0x1
	global_load_b64 v[6:7], v5, s[4:5] offset:40
	global_load_b128 v[12:15], v5, s[4:5]
	s_wait_loadcnt 0x1
	v_and_b32_e32 v6, s6, v6
	v_and_b32_e32 v7, s7, v7
	s_delay_alu instid0(VALU_DEP_1) | instskip(SKIP_1) | instid1(VALU_DEP_1)
	v_mul_u64_e32 v[0:1], 24, v[6:7]
	s_wait_loadcnt 0x0
	v_add_nc_u64_e32 v[0:1], v[12:13], v[0:1]
	s_wait_xcnt 0x0
	s_and_saveexec_b32 s8, s2
	s_cbranch_execz .LBB4_276
; %bb.275:
	v_mov_b64_e32 v[18:19], 0x100000002
	v_dual_mov_b32 v16, s3 :: v_dual_mov_b32 v17, v5
	global_store_b128 v[0:1], v[16:19], off offset:8
.LBB4_276:
	s_wait_xcnt 0x0
	s_or_b32 exec_lo, exec_lo, s8
	v_lshlrev_b64_e32 v[6:7], 12, v[6:7]
	s_mov_b32 s8, 0
	s_bcnt1_i32_b32 s3, s18
	s_mov_b32 s10, s8
	s_mov_b32 s11, s8
	;; [unrolled: 1-line block ×3, first 2 shown]
	v_mov_b64_e32 v[18:19], s[10:11]
	v_add_nc_u64_e32 v[14:15], v[14:15], v[6:7]
	v_mov_b64_e32 v[16:17], s[8:9]
	v_and_or_b32 v8, 0xffffff1f, v8, 32
	v_dual_mov_b32 v11, v5 :: v_dual_mov_b32 v10, s3
	s_delay_alu instid0(VALU_DEP_4)
	v_readfirstlane_b32 s12, v14
	v_readfirstlane_b32 s13, v15
	s_clause 0x3
	global_store_b128 v4, v[8:11], s[12:13]
	global_store_b128 v4, v[16:19], s[12:13] offset:16
	global_store_b128 v4, v[16:19], s[12:13] offset:32
	;; [unrolled: 1-line block ×3, first 2 shown]
	s_wait_xcnt 0x0
	s_and_saveexec_b32 s3, s2
	s_cbranch_execz .LBB4_284
; %bb.277:
	v_dual_mov_b32 v16, 0 :: v_dual_mov_b32 v19, s7
	s_mov_b32 s8, exec_lo
	s_clause 0x1
	global_load_b64 v[20:21], v16, s[4:5] offset:32 scope:SCOPE_SYS
	global_load_b64 v[6:7], v16, s[4:5] offset:40
	s_wait_loadcnt 0x0
	v_dual_mov_b32 v18, s6 :: v_dual_bitop2_b32 v7, s7, v7 bitop3:0x40
	v_and_b32_e32 v6, s6, v6
	s_delay_alu instid0(VALU_DEP_1) | instskip(NEXT) | instid1(VALU_DEP_1)
	v_mul_u64_e32 v[6:7], 24, v[6:7]
	v_add_nc_u64_e32 v[10:11], v[12:13], v[6:7]
	global_store_b64 v[10:11], v[20:21], off
	global_wb scope:SCOPE_SYS
	s_wait_storecnt 0x0
	s_wait_xcnt 0x0
	global_atomic_cmpswap_b64 v[8:9], v16, v[18:21], s[4:5] offset:32 th:TH_ATOMIC_RETURN scope:SCOPE_SYS
	s_wait_loadcnt 0x0
	v_cmpx_ne_u64_e64 v[8:9], v[20:21]
	s_cbranch_execz .LBB4_280
; %bb.278:
	s_mov_b32 s9, 0
.LBB4_279:                              ; =>This Inner Loop Header: Depth=1
	v_dual_mov_b32 v6, s6 :: v_dual_mov_b32 v7, s7
	s_sleep 1
	global_store_b64 v[10:11], v[8:9], off
	global_wb scope:SCOPE_SYS
	s_wait_storecnt 0x0
	s_wait_xcnt 0x0
	global_atomic_cmpswap_b64 v[6:7], v16, v[6:9], s[4:5] offset:32 th:TH_ATOMIC_RETURN scope:SCOPE_SYS
	s_wait_loadcnt 0x0
	v_cmp_eq_u64_e32 vcc_lo, v[6:7], v[8:9]
	v_mov_b64_e32 v[8:9], v[6:7]
	s_or_b32 s9, vcc_lo, s9
	s_delay_alu instid0(SALU_CYCLE_1)
	s_and_not1_b32 exec_lo, exec_lo, s9
	s_cbranch_execnz .LBB4_279
.LBB4_280:
	s_or_b32 exec_lo, exec_lo, s8
	v_mov_b32_e32 v9, 0
	s_mov_b32 s9, exec_lo
	s_mov_b32 s8, exec_lo
	v_mbcnt_lo_u32_b32 v8, s9, 0
	global_load_b64 v[6:7], v9, s[4:5] offset:16
	s_wait_xcnt 0x0
	v_cmpx_eq_u32_e32 0, v8
	s_cbranch_execz .LBB4_282
; %bb.281:
	s_bcnt1_i32_b32 s9, s9
	s_delay_alu instid0(SALU_CYCLE_1)
	v_mov_b32_e32 v8, s9
	global_wb scope:SCOPE_SYS
	s_wait_loadcnt 0x0
	s_wait_storecnt 0x0
	global_atomic_add_u64 v[6:7], v[8:9], off offset:8 scope:SCOPE_SYS
.LBB4_282:
	s_wait_xcnt 0x0
	s_or_b32 exec_lo, exec_lo, s8
	s_wait_loadcnt 0x0
	global_load_b64 v[8:9], v[6:7], off offset:16
	s_wait_loadcnt 0x0
	v_cmp_eq_u64_e32 vcc_lo, 0, v[8:9]
	s_cbranch_vccnz .LBB4_284
; %bb.283:
	global_load_b32 v6, v[6:7], off offset:24
	s_wait_xcnt 0x0
	v_mov_b32_e32 v7, 0
	s_wait_loadcnt 0x0
	v_readfirstlane_b32 s8, v6
	global_wb scope:SCOPE_SYS
	s_wait_storecnt 0x0
	global_store_b64 v[8:9], v[6:7], off scope:SCOPE_SYS
	s_and_b32 m0, s8, 0xffffff
	s_sendmsg sendmsg(MSG_INTERRUPT)
.LBB4_284:
	s_wait_xcnt 0x0
	s_or_b32 exec_lo, exec_lo, s3
	v_add_nc_u64_e32 v[6:7], v[14:15], v[4:5]
	s_branch .LBB4_288
.LBB4_285:                              ;   in Loop: Header=BB4_288 Depth=1
	s_wait_xcnt 0x0
	s_or_b32 exec_lo, exec_lo, s3
	s_delay_alu instid0(VALU_DEP_1)
	v_readfirstlane_b32 s3, v5
	s_cmp_eq_u32 s3, 0
	s_cbranch_scc1 .LBB4_287
; %bb.286:                              ;   in Loop: Header=BB4_288 Depth=1
	s_sleep 1
	s_cbranch_execnz .LBB4_288
	s_branch .LBB4_290
.LBB4_287:
	s_branch .LBB4_290
.LBB4_288:                              ; =>This Inner Loop Header: Depth=1
	v_mov_b32_e32 v5, 1
	s_and_saveexec_b32 s3, s2
	s_cbranch_execz .LBB4_285
; %bb.289:                              ;   in Loop: Header=BB4_288 Depth=1
	global_load_b32 v5, v[0:1], off offset:20 scope:SCOPE_SYS
	s_wait_loadcnt 0x0
	global_inv scope:SCOPE_SYS
	v_and_b32_e32 v5, 1, v5
	s_branch .LBB4_285
.LBB4_290:
	global_load_b64 v[0:1], v[6:7], off
	s_wait_xcnt 0x0
	s_and_saveexec_b32 s8, s2
	s_cbranch_execz .LBB4_294
; %bb.291:
	v_mov_b32_e32 v5, 0
	s_clause 0x2
	global_load_b64 v[6:7], v5, s[4:5] offset:40
	global_load_b64 v[14:15], v5, s[4:5] offset:24 scope:SCOPE_SYS
	global_load_b64 v[8:9], v5, s[4:5]
	s_wait_loadcnt 0x2
	v_readfirstlane_b32 s10, v6
	v_readfirstlane_b32 s11, v7
	s_add_nc_u64 s[2:3], s[10:11], 1
	s_delay_alu instid0(SALU_CYCLE_1) | instskip(NEXT) | instid1(SALU_CYCLE_1)
	s_add_nc_u64 s[6:7], s[2:3], s[6:7]
	s_cmp_eq_u64 s[6:7], 0
	s_cselect_b32 s3, s3, s7
	s_cselect_b32 s2, s2, s6
	v_mov_b32_e32 v13, s3
	s_and_b64 s[6:7], s[2:3], s[10:11]
	v_mov_b32_e32 v12, s2
	s_mul_u64 s[6:7], s[6:7], 24
	s_wait_loadcnt 0x0
	v_add_nc_u64_e32 v[10:11], s[6:7], v[8:9]
	global_store_b64 v[10:11], v[14:15], off
	global_wb scope:SCOPE_SYS
	s_wait_storecnt 0x0
	s_wait_xcnt 0x0
	global_atomic_cmpswap_b64 v[8:9], v5, v[12:15], s[4:5] offset:24 th:TH_ATOMIC_RETURN scope:SCOPE_SYS
	s_wait_loadcnt 0x0
	v_cmp_ne_u64_e32 vcc_lo, v[8:9], v[14:15]
	s_and_b32 exec_lo, exec_lo, vcc_lo
	s_cbranch_execz .LBB4_294
; %bb.292:
	s_mov_b32 s6, 0
.LBB4_293:                              ; =>This Inner Loop Header: Depth=1
	v_dual_mov_b32 v6, s2 :: v_dual_mov_b32 v7, s3
	s_sleep 1
	global_store_b64 v[10:11], v[8:9], off
	global_wb scope:SCOPE_SYS
	s_wait_storecnt 0x0
	s_wait_xcnt 0x0
	global_atomic_cmpswap_b64 v[6:7], v5, v[6:9], s[4:5] offset:24 th:TH_ATOMIC_RETURN scope:SCOPE_SYS
	s_wait_loadcnt 0x0
	v_cmp_eq_u64_e32 vcc_lo, v[6:7], v[8:9]
	v_mov_b64_e32 v[8:9], v[6:7]
	s_or_b32 s6, vcc_lo, s6
	s_delay_alu instid0(SALU_CYCLE_1)
	s_and_not1_b32 exec_lo, exec_lo, s6
	s_cbranch_execnz .LBB4_293
.LBB4_294:
	s_or_b32 exec_lo, exec_lo, s8
	v_readfirstlane_b32 s2, v3
	v_mov_b64_e32 v[10:11], 0
	s_delay_alu instid0(VALU_DEP_2)
	v_cmp_eq_u32_e64 s2, s2, v3
	s_and_saveexec_b32 s3, s2
	s_cbranch_execz .LBB4_300
; %bb.295:
	v_mov_b32_e32 v3, 0
	s_mov_b32 s6, exec_lo
	global_load_b64 v[8:9], v3, s[4:5] offset:24 scope:SCOPE_SYS
	s_wait_loadcnt 0x0
	global_inv scope:SCOPE_SYS
	s_clause 0x1
	global_load_b64 v[6:7], v3, s[4:5] offset:40
	global_load_b64 v[10:11], v3, s[4:5]
	s_wait_loadcnt 0x1
	v_and_b32_e32 v6, v6, v8
	v_and_b32_e32 v7, v7, v9
	s_delay_alu instid0(VALU_DEP_1) | instskip(SKIP_1) | instid1(VALU_DEP_1)
	v_mul_u64_e32 v[6:7], 24, v[6:7]
	s_wait_loadcnt 0x0
	v_add_nc_u64_e32 v[6:7], v[10:11], v[6:7]
	global_load_b64 v[6:7], v[6:7], off scope:SCOPE_SYS
	s_wait_xcnt 0x0
	s_wait_loadcnt 0x0
	global_atomic_cmpswap_b64 v[10:11], v3, v[6:9], s[4:5] offset:24 th:TH_ATOMIC_RETURN scope:SCOPE_SYS
	s_wait_loadcnt 0x0
	global_inv scope:SCOPE_SYS
	s_wait_xcnt 0x0
	v_cmpx_ne_u64_e64 v[10:11], v[8:9]
	s_cbranch_execz .LBB4_299
; %bb.296:
	s_mov_b32 s7, 0
.LBB4_297:                              ; =>This Inner Loop Header: Depth=1
	s_sleep 1
	s_clause 0x1
	global_load_b64 v[6:7], v3, s[4:5] offset:40
	global_load_b64 v[12:13], v3, s[4:5]
	v_mov_b64_e32 v[8:9], v[10:11]
	s_wait_loadcnt 0x1
	s_delay_alu instid0(VALU_DEP_1) | instskip(SKIP_1) | instid1(VALU_DEP_1)
	v_and_b32_e32 v5, v6, v8
	s_wait_loadcnt 0x0
	v_mad_nc_u64_u32 v[10:11], v5, 24, v[12:13]
	s_delay_alu instid0(VALU_DEP_3) | instskip(NEXT) | instid1(VALU_DEP_1)
	v_and_b32_e32 v5, v7, v9
	v_mad_u32 v11, v5, 24, v11
	global_load_b64 v[6:7], v[10:11], off scope:SCOPE_SYS
	s_wait_xcnt 0x0
	s_wait_loadcnt 0x0
	global_atomic_cmpswap_b64 v[10:11], v3, v[6:9], s[4:5] offset:24 th:TH_ATOMIC_RETURN scope:SCOPE_SYS
	s_wait_loadcnt 0x0
	global_inv scope:SCOPE_SYS
	v_cmp_eq_u64_e32 vcc_lo, v[10:11], v[8:9]
	s_or_b32 s7, vcc_lo, s7
	s_wait_xcnt 0x0
	s_and_not1_b32 exec_lo, exec_lo, s7
	s_cbranch_execnz .LBB4_297
; %bb.298:
	s_or_b32 exec_lo, exec_lo, s7
.LBB4_299:
	s_delay_alu instid0(SALU_CYCLE_1)
	s_or_b32 exec_lo, exec_lo, s6
.LBB4_300:
	s_delay_alu instid0(SALU_CYCLE_1)
	s_or_b32 exec_lo, exec_lo, s3
	v_readfirstlane_b32 s6, v10
	v_mov_b32_e32 v3, 0
	v_readfirstlane_b32 s7, v11
	s_mov_b32 s3, exec_lo
	s_clause 0x1
	global_load_b64 v[12:13], v3, s[4:5] offset:40
	global_load_b128 v[6:9], v3, s[4:5]
	s_wait_loadcnt 0x1
	v_and_b32_e32 v12, s6, v12
	v_and_b32_e32 v13, s7, v13
	s_delay_alu instid0(VALU_DEP_1) | instskip(SKIP_1) | instid1(VALU_DEP_1)
	v_mul_u64_e32 v[10:11], 24, v[12:13]
	s_wait_loadcnt 0x0
	v_add_nc_u64_e32 v[10:11], v[6:7], v[10:11]
	s_wait_xcnt 0x0
	s_and_saveexec_b32 s8, s2
	s_cbranch_execz .LBB4_302
; %bb.301:
	v_mov_b64_e32 v[16:17], 0x100000002
	v_dual_mov_b32 v14, s3 :: v_dual_mov_b32 v15, v3
	global_store_b128 v[10:11], v[14:17], off offset:8
.LBB4_302:
	s_wait_xcnt 0x0
	s_or_b32 exec_lo, exec_lo, s8
	v_lshlrev_b64_e32 v[12:13], 12, v[12:13]
	s_mov_b32 s8, 0
	v_and_or_b32 v0, 0xffffff1d, v0, 34
	s_mov_b32 s10, s8
	s_mov_b32 s11, s8
	;; [unrolled: 1-line block ×3, first 2 shown]
	s_delay_alu instid0(VALU_DEP_2) | instskip(SKIP_2) | instid1(VALU_DEP_3)
	v_add_nc_u64_e32 v[8:9], v[8:9], v[12:13]
	v_mov_b64_e32 v[14:15], s[10:11]
	v_mov_b64_e32 v[12:13], s[8:9]
	v_readfirstlane_b32 s12, v8
	s_delay_alu instid0(VALU_DEP_4)
	v_readfirstlane_b32 s13, v9
	s_clause 0x3
	global_store_b128 v4, v[0:3], s[12:13]
	global_store_b128 v4, v[12:15], s[12:13] offset:16
	global_store_b128 v4, v[12:15], s[12:13] offset:32
	;; [unrolled: 1-line block ×3, first 2 shown]
	s_wait_xcnt 0x0
	s_and_saveexec_b32 s3, s2
	s_cbranch_execz .LBB4_310
; %bb.303:
	v_dual_mov_b32 v8, 0 :: v_dual_mov_b32 v13, s7
	s_mov_b32 s8, exec_lo
	s_clause 0x1
	global_load_b64 v[14:15], v8, s[4:5] offset:32 scope:SCOPE_SYS
	global_load_b64 v[0:1], v8, s[4:5] offset:40
	s_wait_loadcnt 0x0
	v_dual_mov_b32 v12, s6 :: v_dual_bitop2_b32 v1, s7, v1 bitop3:0x40
	v_and_b32_e32 v0, s6, v0
	s_delay_alu instid0(VALU_DEP_1) | instskip(NEXT) | instid1(VALU_DEP_1)
	v_mul_u64_e32 v[0:1], 24, v[0:1]
	v_add_nc_u64_e32 v[4:5], v[6:7], v[0:1]
	global_store_b64 v[4:5], v[14:15], off
	global_wb scope:SCOPE_SYS
	s_wait_storecnt 0x0
	s_wait_xcnt 0x0
	global_atomic_cmpswap_b64 v[2:3], v8, v[12:15], s[4:5] offset:32 th:TH_ATOMIC_RETURN scope:SCOPE_SYS
	s_wait_loadcnt 0x0
	v_cmpx_ne_u64_e64 v[2:3], v[14:15]
	s_cbranch_execz .LBB4_306
; %bb.304:
	s_mov_b32 s9, 0
.LBB4_305:                              ; =>This Inner Loop Header: Depth=1
	v_dual_mov_b32 v0, s6 :: v_dual_mov_b32 v1, s7
	s_sleep 1
	global_store_b64 v[4:5], v[2:3], off
	global_wb scope:SCOPE_SYS
	s_wait_storecnt 0x0
	s_wait_xcnt 0x0
	global_atomic_cmpswap_b64 v[0:1], v8, v[0:3], s[4:5] offset:32 th:TH_ATOMIC_RETURN scope:SCOPE_SYS
	s_wait_loadcnt 0x0
	v_cmp_eq_u64_e32 vcc_lo, v[0:1], v[2:3]
	v_mov_b64_e32 v[2:3], v[0:1]
	s_or_b32 s9, vcc_lo, s9
	s_delay_alu instid0(SALU_CYCLE_1)
	s_and_not1_b32 exec_lo, exec_lo, s9
	s_cbranch_execnz .LBB4_305
.LBB4_306:
	s_or_b32 exec_lo, exec_lo, s8
	v_mov_b32_e32 v3, 0
	s_mov_b32 s9, exec_lo
	s_mov_b32 s8, exec_lo
	v_mbcnt_lo_u32_b32 v2, s9, 0
	global_load_b64 v[0:1], v3, s[4:5] offset:16
	s_wait_xcnt 0x0
	v_cmpx_eq_u32_e32 0, v2
	s_cbranch_execz .LBB4_308
; %bb.307:
	s_bcnt1_i32_b32 s9, s9
	s_delay_alu instid0(SALU_CYCLE_1)
	v_mov_b32_e32 v2, s9
	global_wb scope:SCOPE_SYS
	s_wait_loadcnt 0x0
	s_wait_storecnt 0x0
	global_atomic_add_u64 v[0:1], v[2:3], off offset:8 scope:SCOPE_SYS
.LBB4_308:
	s_wait_xcnt 0x0
	s_or_b32 exec_lo, exec_lo, s8
	s_wait_loadcnt 0x0
	global_load_b64 v[2:3], v[0:1], off offset:16
	s_wait_loadcnt 0x0
	v_cmp_eq_u64_e32 vcc_lo, 0, v[2:3]
	s_cbranch_vccnz .LBB4_310
; %bb.309:
	global_load_b32 v0, v[0:1], off offset:24
	s_wait_xcnt 0x0
	v_mov_b32_e32 v1, 0
	s_wait_loadcnt 0x0
	v_readfirstlane_b32 s8, v0
	global_wb scope:SCOPE_SYS
	s_wait_storecnt 0x0
	global_store_b64 v[2:3], v[0:1], off scope:SCOPE_SYS
	s_and_b32 m0, s8, 0xffffff
	s_sendmsg sendmsg(MSG_INTERRUPT)
.LBB4_310:
	s_wait_xcnt 0x0
	s_or_b32 exec_lo, exec_lo, s3
	s_branch .LBB4_314
.LBB4_311:                              ;   in Loop: Header=BB4_314 Depth=1
	s_wait_xcnt 0x0
	s_or_b32 exec_lo, exec_lo, s3
	s_delay_alu instid0(VALU_DEP_1)
	v_readfirstlane_b32 s3, v0
	s_cmp_eq_u32 s3, 0
	s_cbranch_scc1 .LBB4_313
; %bb.312:                              ;   in Loop: Header=BB4_314 Depth=1
	s_sleep 1
	s_cbranch_execnz .LBB4_314
	s_branch .LBB4_316
.LBB4_313:
	s_branch .LBB4_316
.LBB4_314:                              ; =>This Inner Loop Header: Depth=1
	v_mov_b32_e32 v0, 1
	s_and_saveexec_b32 s3, s2
	s_cbranch_execz .LBB4_311
; %bb.315:                              ;   in Loop: Header=BB4_314 Depth=1
	global_load_b32 v0, v[10:11], off offset:20 scope:SCOPE_SYS
	s_wait_loadcnt 0x0
	global_inv scope:SCOPE_SYS
	v_and_b32_e32 v0, 1, v0
	s_branch .LBB4_311
.LBB4_316:
	s_and_b32 exec_lo, exec_lo, s2
	s_cbranch_execz .LBB4_320
; %bb.317:
	v_mov_b32_e32 v6, 0
	s_clause 0x2
	global_load_b64 v[0:1], v6, s[4:5] offset:40
	global_load_b64 v[10:11], v6, s[4:5] offset:24 scope:SCOPE_SYS
	global_load_b64 v[2:3], v6, s[4:5]
	s_wait_loadcnt 0x2
	v_readfirstlane_b32 s8, v0
	v_readfirstlane_b32 s9, v1
	s_add_nc_u64 s[2:3], s[8:9], 1
	s_delay_alu instid0(SALU_CYCLE_1) | instskip(NEXT) | instid1(SALU_CYCLE_1)
	s_add_nc_u64 s[6:7], s[2:3], s[6:7]
	s_cmp_eq_u64 s[6:7], 0
	s_cselect_b32 s3, s3, s7
	s_cselect_b32 s2, s2, s6
	v_mov_b32_e32 v9, s3
	s_and_b64 s[6:7], s[2:3], s[8:9]
	v_mov_b32_e32 v8, s2
	s_mul_u64 s[6:7], s[6:7], 24
	s_wait_loadcnt 0x0
	v_add_nc_u64_e32 v[4:5], s[6:7], v[2:3]
	global_store_b64 v[4:5], v[10:11], off
	global_wb scope:SCOPE_SYS
	s_wait_storecnt 0x0
	s_wait_xcnt 0x0
	global_atomic_cmpswap_b64 v[2:3], v6, v[8:11], s[4:5] offset:24 th:TH_ATOMIC_RETURN scope:SCOPE_SYS
	s_wait_loadcnt 0x0
	v_cmp_ne_u64_e32 vcc_lo, v[2:3], v[10:11]
	s_and_b32 exec_lo, exec_lo, vcc_lo
	s_cbranch_execz .LBB4_320
; %bb.318:
	s_mov_b32 s6, 0
.LBB4_319:                              ; =>This Inner Loop Header: Depth=1
	v_dual_mov_b32 v0, s2 :: v_dual_mov_b32 v1, s3
	s_sleep 1
	global_store_b64 v[4:5], v[2:3], off
	global_wb scope:SCOPE_SYS
	s_wait_storecnt 0x0
	s_wait_xcnt 0x0
	global_atomic_cmpswap_b64 v[0:1], v6, v[0:3], s[4:5] offset:24 th:TH_ATOMIC_RETURN scope:SCOPE_SYS
	s_wait_loadcnt 0x0
	v_cmp_eq_u64_e32 vcc_lo, v[0:1], v[2:3]
	v_mov_b64_e32 v[2:3], v[0:1]
	s_or_b32 s6, vcc_lo, s6
	s_delay_alu instid0(SALU_CYCLE_1)
	s_and_not1_b32 exec_lo, exec_lo, s6
	s_cbranch_execnz .LBB4_319
.LBB4_320:
	s_or_b32 exec_lo, exec_lo, s17
                                        ; implicit-def: $vgpr2
.LBB4_321:
	s_and_not1_saveexec_b32 s2, s16
	s_cbranch_execz .LBB4_508
; %bb.322:
	s_mov_b32 s14, exec_lo
	s_mov_b32 s2, exec_lo
	v_mbcnt_lo_u32_b32 v0, s14, 0
	s_delay_alu instid0(VALU_DEP_1)
	v_cmpx_eq_u32_e32 0, v0
	s_cbranch_execz .LBB4_508
; %bb.323:
	s_load_b64 s[2:3], s[0:1], 0x50
	v_mbcnt_lo_u32_b32 v3, -1, 0
	v_mov_b64_e32 v[0:1], 0
	s_wait_xcnt 0x0
	s_delay_alu instid0(VALU_DEP_2) | instskip(NEXT) | instid1(VALU_DEP_1)
	v_readfirstlane_b32 s0, v3
	v_cmp_eq_u32_e64 s0, s0, v3
	s_and_saveexec_b32 s1, s0
	s_cbranch_execz .LBB4_329
; %bb.324:
	v_mov_b32_e32 v4, 0
	s_mov_b32 s4, exec_lo
	s_wait_kmcnt 0x0
	global_load_b64 v[8:9], v4, s[2:3] offset:24 scope:SCOPE_SYS
	s_wait_loadcnt 0x0
	global_inv scope:SCOPE_SYS
	s_clause 0x1
	global_load_b64 v[0:1], v4, s[2:3] offset:40
	global_load_b64 v[6:7], v4, s[2:3]
	s_wait_loadcnt 0x1
	v_and_b32_e32 v0, v0, v8
	v_and_b32_e32 v1, v1, v9
	s_delay_alu instid0(VALU_DEP_1) | instskip(SKIP_1) | instid1(VALU_DEP_1)
	v_mul_u64_e32 v[0:1], 24, v[0:1]
	s_wait_loadcnt 0x0
	v_add_nc_u64_e32 v[0:1], v[6:7], v[0:1]
	global_load_b64 v[6:7], v[0:1], off scope:SCOPE_SYS
	s_wait_xcnt 0x0
	s_wait_loadcnt 0x0
	global_atomic_cmpswap_b64 v[0:1], v4, v[6:9], s[2:3] offset:24 th:TH_ATOMIC_RETURN scope:SCOPE_SYS
	s_wait_loadcnt 0x0
	global_inv scope:SCOPE_SYS
	s_wait_xcnt 0x0
	v_cmpx_ne_u64_e64 v[0:1], v[8:9]
	s_cbranch_execz .LBB4_328
; %bb.325:
	s_mov_b32 s5, 0
.LBB4_326:                              ; =>This Inner Loop Header: Depth=1
	s_sleep 1
	s_clause 0x1
	global_load_b64 v[6:7], v4, s[2:3] offset:40
	global_load_b64 v[10:11], v4, s[2:3]
	v_mov_b64_e32 v[8:9], v[0:1]
	s_wait_loadcnt 0x1
	s_delay_alu instid0(VALU_DEP_1) | instskip(NEXT) | instid1(VALU_DEP_2)
	v_and_b32_e32 v0, v6, v8
	v_and_b32_e32 v5, v7, v9
	s_wait_loadcnt 0x0
	s_delay_alu instid0(VALU_DEP_2) | instskip(NEXT) | instid1(VALU_DEP_1)
	v_mad_nc_u64_u32 v[0:1], v0, 24, v[10:11]
	v_mad_u32 v1, v5, 24, v1
	global_load_b64 v[6:7], v[0:1], off scope:SCOPE_SYS
	s_wait_xcnt 0x0
	s_wait_loadcnt 0x0
	global_atomic_cmpswap_b64 v[0:1], v4, v[6:9], s[2:3] offset:24 th:TH_ATOMIC_RETURN scope:SCOPE_SYS
	s_wait_loadcnt 0x0
	global_inv scope:SCOPE_SYS
	v_cmp_eq_u64_e32 vcc_lo, v[0:1], v[8:9]
	s_or_b32 s5, vcc_lo, s5
	s_wait_xcnt 0x0
	s_and_not1_b32 exec_lo, exec_lo, s5
	s_cbranch_execnz .LBB4_326
; %bb.327:
	s_or_b32 exec_lo, exec_lo, s5
.LBB4_328:
	s_delay_alu instid0(SALU_CYCLE_1)
	s_or_b32 exec_lo, exec_lo, s4
.LBB4_329:
	s_delay_alu instid0(SALU_CYCLE_1)
	s_or_b32 exec_lo, exec_lo, s1
	v_readfirstlane_b32 s4, v0
	v_mov_b32_e32 v5, 0
	v_readfirstlane_b32 s5, v1
	s_mov_b32 s1, exec_lo
	s_wait_kmcnt 0x0
	s_clause 0x1
	global_load_b64 v[6:7], v5, s[2:3] offset:40
	global_load_b128 v[8:11], v5, s[2:3]
	s_wait_loadcnt 0x1
	v_and_b32_e32 v12, s4, v6
	v_and_b32_e32 v13, s5, v7
	s_delay_alu instid0(VALU_DEP_1) | instskip(SKIP_1) | instid1(VALU_DEP_1)
	v_mul_u64_e32 v[0:1], 24, v[12:13]
	s_wait_loadcnt 0x0
	v_add_nc_u64_e32 v[0:1], v[8:9], v[0:1]
	s_wait_xcnt 0x0
	s_and_saveexec_b32 s6, s0
	s_cbranch_execz .LBB4_331
; %bb.330:
	v_mov_b64_e32 v[6:7], 0x100000002
	v_mov_b32_e32 v4, s1
	global_store_b128 v[0:1], v[4:7], off offset:8
.LBB4_331:
	s_wait_xcnt 0x0
	s_or_b32 exec_lo, exec_lo, s6
	v_lshlrev_b64_e32 v[6:7], 12, v[12:13]
	s_mov_b32 s8, 0
	v_dual_lshlrev_b32 v4, 6, v3 :: v_dual_mov_b32 v12, 33
	s_mov_b32 s10, s8
	s_mov_b32 s11, s8
	s_mov_b32 s9, s8
	s_delay_alu instid0(VALU_DEP_2)
	v_add_nc_u64_e32 v[10:11], v[10:11], v[6:7]
	v_mov_b64_e32 v[18:19], s[10:11]
	v_mov_b64_e32 v[16:17], s[8:9]
	v_dual_mov_b32 v13, v5 :: v_dual_mov_b32 v14, v5
	v_mov_b32_e32 v15, v5
	v_readfirstlane_b32 s6, v10
	v_readfirstlane_b32 s7, v11
	s_clause 0x3
	global_store_b128 v4, v[12:15], s[6:7]
	global_store_b128 v4, v[16:19], s[6:7] offset:16
	global_store_b128 v4, v[16:19], s[6:7] offset:32
	global_store_b128 v4, v[16:19], s[6:7] offset:48
	s_wait_xcnt 0x0
	s_and_saveexec_b32 s1, s0
	s_cbranch_execz .LBB4_339
; %bb.332:
	v_dual_mov_b32 v14, 0 :: v_dual_mov_b32 v17, s5
	s_mov_b32 s6, exec_lo
	s_clause 0x1
	global_load_b64 v[18:19], v14, s[2:3] offset:32 scope:SCOPE_SYS
	global_load_b64 v[6:7], v14, s[2:3] offset:40
	s_wait_loadcnt 0x0
	v_dual_mov_b32 v16, s4 :: v_dual_bitop2_b32 v7, s5, v7 bitop3:0x40
	v_and_b32_e32 v6, s4, v6
	s_delay_alu instid0(VALU_DEP_1) | instskip(NEXT) | instid1(VALU_DEP_1)
	v_mul_u64_e32 v[6:7], 24, v[6:7]
	v_add_nc_u64_e32 v[12:13], v[8:9], v[6:7]
	global_store_b64 v[12:13], v[18:19], off
	global_wb scope:SCOPE_SYS
	s_wait_storecnt 0x0
	s_wait_xcnt 0x0
	global_atomic_cmpswap_b64 v[8:9], v14, v[16:19], s[2:3] offset:32 th:TH_ATOMIC_RETURN scope:SCOPE_SYS
	s_wait_loadcnt 0x0
	v_cmpx_ne_u64_e64 v[8:9], v[18:19]
	s_cbranch_execz .LBB4_335
; %bb.333:
	s_mov_b32 s7, 0
.LBB4_334:                              ; =>This Inner Loop Header: Depth=1
	v_dual_mov_b32 v6, s4 :: v_dual_mov_b32 v7, s5
	s_sleep 1
	global_store_b64 v[12:13], v[8:9], off
	global_wb scope:SCOPE_SYS
	s_wait_storecnt 0x0
	s_wait_xcnt 0x0
	global_atomic_cmpswap_b64 v[6:7], v14, v[6:9], s[2:3] offset:32 th:TH_ATOMIC_RETURN scope:SCOPE_SYS
	s_wait_loadcnt 0x0
	v_cmp_eq_u64_e32 vcc_lo, v[6:7], v[8:9]
	v_mov_b64_e32 v[8:9], v[6:7]
	s_or_b32 s7, vcc_lo, s7
	s_delay_alu instid0(SALU_CYCLE_1)
	s_and_not1_b32 exec_lo, exec_lo, s7
	s_cbranch_execnz .LBB4_334
.LBB4_335:
	s_or_b32 exec_lo, exec_lo, s6
	v_mov_b32_e32 v9, 0
	s_mov_b32 s7, exec_lo
	s_mov_b32 s6, exec_lo
	v_mbcnt_lo_u32_b32 v8, s7, 0
	global_load_b64 v[6:7], v9, s[2:3] offset:16
	s_wait_xcnt 0x0
	v_cmpx_eq_u32_e32 0, v8
	s_cbranch_execz .LBB4_337
; %bb.336:
	s_bcnt1_i32_b32 s7, s7
	s_delay_alu instid0(SALU_CYCLE_1)
	v_mov_b32_e32 v8, s7
	global_wb scope:SCOPE_SYS
	s_wait_loadcnt 0x0
	s_wait_storecnt 0x0
	global_atomic_add_u64 v[6:7], v[8:9], off offset:8 scope:SCOPE_SYS
.LBB4_337:
	s_wait_xcnt 0x0
	s_or_b32 exec_lo, exec_lo, s6
	s_wait_loadcnt 0x0
	global_load_b64 v[8:9], v[6:7], off offset:16
	s_wait_loadcnt 0x0
	v_cmp_eq_u64_e32 vcc_lo, 0, v[8:9]
	s_cbranch_vccnz .LBB4_339
; %bb.338:
	global_load_b32 v6, v[6:7], off offset:24
	s_wait_xcnt 0x0
	v_mov_b32_e32 v7, 0
	s_wait_loadcnt 0x0
	v_readfirstlane_b32 s6, v6
	global_wb scope:SCOPE_SYS
	s_wait_storecnt 0x0
	global_store_b64 v[8:9], v[6:7], off scope:SCOPE_SYS
	s_and_b32 m0, s6, 0xffffff
	s_sendmsg sendmsg(MSG_INTERRUPT)
.LBB4_339:
	s_wait_xcnt 0x0
	s_or_b32 exec_lo, exec_lo, s1
	v_add_nc_u64_e32 v[6:7], v[10:11], v[4:5]
	s_branch .LBB4_343
.LBB4_340:                              ;   in Loop: Header=BB4_343 Depth=1
	s_wait_xcnt 0x0
	s_or_b32 exec_lo, exec_lo, s1
	s_delay_alu instid0(VALU_DEP_1)
	v_readfirstlane_b32 s1, v5
	s_cmp_eq_u32 s1, 0
	s_cbranch_scc1 .LBB4_342
; %bb.341:                              ;   in Loop: Header=BB4_343 Depth=1
	s_sleep 1
	s_cbranch_execnz .LBB4_343
	s_branch .LBB4_345
.LBB4_342:
	s_branch .LBB4_345
.LBB4_343:                              ; =>This Inner Loop Header: Depth=1
	v_mov_b32_e32 v5, 1
	s_and_saveexec_b32 s1, s0
	s_cbranch_execz .LBB4_340
; %bb.344:                              ;   in Loop: Header=BB4_343 Depth=1
	global_load_b32 v5, v[0:1], off offset:20 scope:SCOPE_SYS
	s_wait_loadcnt 0x0
	global_inv scope:SCOPE_SYS
	v_and_b32_e32 v5, 1, v5
	s_branch .LBB4_340
.LBB4_345:
	global_load_b64 v[6:7], v[6:7], off
	s_wait_xcnt 0x0
	s_and_saveexec_b32 s6, s0
	s_cbranch_execz .LBB4_349
; %bb.346:
	v_mov_b32_e32 v5, 0
	s_clause 0x2
	global_load_b64 v[0:1], v5, s[2:3] offset:40
	global_load_b64 v[12:13], v5, s[2:3] offset:24 scope:SCOPE_SYS
	global_load_b64 v[8:9], v5, s[2:3]
	s_wait_loadcnt 0x2
	v_readfirstlane_b32 s8, v0
	v_readfirstlane_b32 s9, v1
	s_add_nc_u64 s[0:1], s[8:9], 1
	s_delay_alu instid0(SALU_CYCLE_1) | instskip(NEXT) | instid1(SALU_CYCLE_1)
	s_add_nc_u64 s[4:5], s[0:1], s[4:5]
	s_cmp_eq_u64 s[4:5], 0
	s_cselect_b32 s1, s1, s5
	s_cselect_b32 s0, s0, s4
	v_mov_b32_e32 v11, s1
	s_and_b64 s[4:5], s[0:1], s[8:9]
	v_mov_b32_e32 v10, s0
	s_mul_u64 s[4:5], s[4:5], 24
	s_wait_loadcnt 0x0
	v_add_nc_u64_e32 v[0:1], s[4:5], v[8:9]
	global_store_b64 v[0:1], v[12:13], off
	global_wb scope:SCOPE_SYS
	s_wait_storecnt 0x0
	s_wait_xcnt 0x0
	global_atomic_cmpswap_b64 v[10:11], v5, v[10:13], s[2:3] offset:24 th:TH_ATOMIC_RETURN scope:SCOPE_SYS
	s_wait_loadcnt 0x0
	v_cmp_ne_u64_e32 vcc_lo, v[10:11], v[12:13]
	s_and_b32 exec_lo, exec_lo, vcc_lo
	s_cbranch_execz .LBB4_349
; %bb.347:
	s_mov_b32 s4, 0
.LBB4_348:                              ; =>This Inner Loop Header: Depth=1
	v_dual_mov_b32 v8, s0 :: v_dual_mov_b32 v9, s1
	s_sleep 1
	global_store_b64 v[0:1], v[10:11], off
	global_wb scope:SCOPE_SYS
	s_wait_storecnt 0x0
	s_wait_xcnt 0x0
	global_atomic_cmpswap_b64 v[8:9], v5, v[8:11], s[2:3] offset:24 th:TH_ATOMIC_RETURN scope:SCOPE_SYS
	s_wait_loadcnt 0x0
	v_cmp_eq_u64_e32 vcc_lo, v[8:9], v[10:11]
	v_mov_b64_e32 v[10:11], v[8:9]
	s_or_b32 s4, vcc_lo, s4
	s_delay_alu instid0(SALU_CYCLE_1)
	s_and_not1_b32 exec_lo, exec_lo, s4
	s_cbranch_execnz .LBB4_348
.LBB4_349:
	s_or_b32 exec_lo, exec_lo, s6
	s_get_pc_i64 s[4:5]
	s_add_nc_u64 s[4:5], s[4:5], .str.5@rel64+4
	s_delay_alu instid0(SALU_CYCLE_1)
	s_cmp_lg_u64 s[4:5], 0
	s_cbranch_scc0 .LBB4_428
; %bb.350:
	v_mov_b64_e32 v[14:15], 0x100000002
	s_wait_loadcnt 0x0
	v_dual_mov_b32 v13, 0 :: v_dual_bitop2_b32 v0, 2, v6 bitop3:0x40
	v_dual_mov_b32 v9, v7 :: v_dual_bitop2_b32 v8, -3, v6 bitop3:0x40
	s_mov_b64 s[6:7], 0x59
	s_branch .LBB4_352
.LBB4_351:                              ;   in Loop: Header=BB4_352 Depth=1
	s_or_b32 exec_lo, exec_lo, s12
	s_sub_nc_u64 s[6:7], s[6:7], s[8:9]
	s_add_nc_u64 s[4:5], s[4:5], s[8:9]
	s_cmp_lg_u64 s[6:7], 0
	s_cbranch_scc0 .LBB4_427
.LBB4_352:                              ; =>This Loop Header: Depth=1
                                        ;     Child Loop BB4_355 Depth 2
                                        ;     Child Loop BB4_362 Depth 2
	;; [unrolled: 1-line block ×11, first 2 shown]
	v_min_u64 v[10:11], s[6:7], 56
	v_cmp_gt_u64_e64 s0, s[6:7], 7
	s_and_b32 vcc_lo, exec_lo, s0
	v_readfirstlane_b32 s8, v10
	v_readfirstlane_b32 s9, v11
	s_cbranch_vccnz .LBB4_357
; %bb.353:                              ;   in Loop: Header=BB4_352 Depth=1
	v_mov_b64_e32 v[10:11], 0
	s_cmp_eq_u64 s[6:7], 0
	s_cbranch_scc1 .LBB4_356
; %bb.354:                              ;   in Loop: Header=BB4_352 Depth=1
	s_mov_b64 s[0:1], 0
	s_mov_b64 s[10:11], 0
.LBB4_355:                              ;   Parent Loop BB4_352 Depth=1
                                        ; =>  This Inner Loop Header: Depth=2
	s_wait_xcnt 0x0
	s_add_nc_u64 s[12:13], s[4:5], s[10:11]
	s_add_nc_u64 s[10:11], s[10:11], 1
	global_load_u8 v1, v13, s[12:13]
	s_cmp_lg_u32 s8, s10
	s_wait_loadcnt 0x0
	v_and_b32_e32 v12, 0xffff, v1
	s_delay_alu instid0(VALU_DEP_1) | instskip(SKIP_1) | instid1(VALU_DEP_1)
	v_lshlrev_b64_e32 v[16:17], s0, v[12:13]
	s_add_nc_u64 s[0:1], s[0:1], 8
	v_or_b32_e32 v10, v16, v10
	s_delay_alu instid0(VALU_DEP_2)
	v_or_b32_e32 v11, v17, v11
	s_cbranch_scc1 .LBB4_355
.LBB4_356:                              ;   in Loop: Header=BB4_352 Depth=1
	s_mov_b64 s[10:11], s[4:5]
	s_mov_b32 s15, 0
	s_cbranch_execz .LBB4_358
	s_branch .LBB4_359
.LBB4_357:                              ;   in Loop: Header=BB4_352 Depth=1
	s_add_nc_u64 s[10:11], s[4:5], 8
	s_mov_b32 s15, 0
.LBB4_358:                              ;   in Loop: Header=BB4_352 Depth=1
	global_load_b64 v[10:11], v13, s[4:5]
	s_add_co_i32 s15, s8, -8
.LBB4_359:                              ;   in Loop: Header=BB4_352 Depth=1
	s_delay_alu instid0(SALU_CYCLE_1)
	s_cmp_gt_u32 s15, 7
	s_cbranch_scc1 .LBB4_364
; %bb.360:                              ;   in Loop: Header=BB4_352 Depth=1
	v_mov_b64_e32 v[16:17], 0
	s_cmp_eq_u32 s15, 0
	s_cbranch_scc1 .LBB4_363
; %bb.361:                              ;   in Loop: Header=BB4_352 Depth=1
	s_mov_b64 s[0:1], 0
	s_wait_xcnt 0x0
	s_mov_b64 s[12:13], 0
.LBB4_362:                              ;   Parent Loop BB4_352 Depth=1
                                        ; =>  This Inner Loop Header: Depth=2
	s_wait_xcnt 0x0
	s_add_nc_u64 s[16:17], s[10:11], s[12:13]
	s_add_nc_u64 s[12:13], s[12:13], 1
	global_load_u8 v1, v13, s[16:17]
	s_cmp_lg_u32 s15, s12
	s_wait_loadcnt 0x0
	v_and_b32_e32 v12, 0xffff, v1
	s_delay_alu instid0(VALU_DEP_1) | instskip(SKIP_1) | instid1(VALU_DEP_1)
	v_lshlrev_b64_e32 v[18:19], s0, v[12:13]
	s_add_nc_u64 s[0:1], s[0:1], 8
	v_or_b32_e32 v16, v18, v16
	s_delay_alu instid0(VALU_DEP_2)
	v_or_b32_e32 v17, v19, v17
	s_cbranch_scc1 .LBB4_362
.LBB4_363:                              ;   in Loop: Header=BB4_352 Depth=1
	s_wait_xcnt 0x0
	s_mov_b64 s[0:1], s[10:11]
	s_mov_b32 s16, 0
	s_cbranch_execz .LBB4_365
	s_branch .LBB4_366
.LBB4_364:                              ;   in Loop: Header=BB4_352 Depth=1
	s_add_nc_u64 s[0:1], s[10:11], 8
	s_wait_xcnt 0x0
                                        ; implicit-def: $vgpr16_vgpr17
	s_mov_b32 s16, 0
.LBB4_365:                              ;   in Loop: Header=BB4_352 Depth=1
	global_load_b64 v[16:17], v13, s[10:11]
	s_add_co_i32 s16, s15, -8
.LBB4_366:                              ;   in Loop: Header=BB4_352 Depth=1
	s_delay_alu instid0(SALU_CYCLE_1)
	s_cmp_gt_u32 s16, 7
	s_cbranch_scc1 .LBB4_371
; %bb.367:                              ;   in Loop: Header=BB4_352 Depth=1
	v_mov_b64_e32 v[18:19], 0
	s_cmp_eq_u32 s16, 0
	s_cbranch_scc1 .LBB4_370
; %bb.368:                              ;   in Loop: Header=BB4_352 Depth=1
	s_wait_xcnt 0x0
	s_mov_b64 s[10:11], 0
	s_mov_b64 s[12:13], 0
.LBB4_369:                              ;   Parent Loop BB4_352 Depth=1
                                        ; =>  This Inner Loop Header: Depth=2
	s_wait_xcnt 0x0
	s_add_nc_u64 s[18:19], s[0:1], s[12:13]
	s_add_nc_u64 s[12:13], s[12:13], 1
	global_load_u8 v1, v13, s[18:19]
	s_cmp_lg_u32 s16, s12
	s_wait_loadcnt 0x0
	v_and_b32_e32 v12, 0xffff, v1
	s_delay_alu instid0(VALU_DEP_1) | instskip(SKIP_1) | instid1(VALU_DEP_1)
	v_lshlrev_b64_e32 v[20:21], s10, v[12:13]
	s_add_nc_u64 s[10:11], s[10:11], 8
	v_or_b32_e32 v18, v20, v18
	s_delay_alu instid0(VALU_DEP_2)
	v_or_b32_e32 v19, v21, v19
	s_cbranch_scc1 .LBB4_369
.LBB4_370:                              ;   in Loop: Header=BB4_352 Depth=1
	s_wait_xcnt 0x0
	s_mov_b64 s[10:11], s[0:1]
	s_mov_b32 s15, 0
	s_cbranch_execz .LBB4_372
	s_branch .LBB4_373
.LBB4_371:                              ;   in Loop: Header=BB4_352 Depth=1
	s_wait_xcnt 0x0
	s_add_nc_u64 s[10:11], s[0:1], 8
	s_mov_b32 s15, 0
.LBB4_372:                              ;   in Loop: Header=BB4_352 Depth=1
	global_load_b64 v[18:19], v13, s[0:1]
	s_add_co_i32 s15, s16, -8
.LBB4_373:                              ;   in Loop: Header=BB4_352 Depth=1
	s_delay_alu instid0(SALU_CYCLE_1)
	s_cmp_gt_u32 s15, 7
	s_cbranch_scc1 .LBB4_378
; %bb.374:                              ;   in Loop: Header=BB4_352 Depth=1
	v_mov_b64_e32 v[20:21], 0
	s_cmp_eq_u32 s15, 0
	s_cbranch_scc1 .LBB4_377
; %bb.375:                              ;   in Loop: Header=BB4_352 Depth=1
	s_wait_xcnt 0x0
	s_mov_b64 s[0:1], 0
	s_mov_b64 s[12:13], 0
.LBB4_376:                              ;   Parent Loop BB4_352 Depth=1
                                        ; =>  This Inner Loop Header: Depth=2
	s_wait_xcnt 0x0
	s_add_nc_u64 s[16:17], s[10:11], s[12:13]
	s_add_nc_u64 s[12:13], s[12:13], 1
	global_load_u8 v1, v13, s[16:17]
	s_cmp_lg_u32 s15, s12
	s_wait_loadcnt 0x0
	v_and_b32_e32 v12, 0xffff, v1
	s_delay_alu instid0(VALU_DEP_1) | instskip(SKIP_1) | instid1(VALU_DEP_1)
	v_lshlrev_b64_e32 v[22:23], s0, v[12:13]
	s_add_nc_u64 s[0:1], s[0:1], 8
	v_or_b32_e32 v20, v22, v20
	s_delay_alu instid0(VALU_DEP_2)
	v_or_b32_e32 v21, v23, v21
	s_cbranch_scc1 .LBB4_376
.LBB4_377:                              ;   in Loop: Header=BB4_352 Depth=1
	s_wait_xcnt 0x0
	s_mov_b64 s[0:1], s[10:11]
	s_mov_b32 s16, 0
	s_cbranch_execz .LBB4_379
	s_branch .LBB4_380
.LBB4_378:                              ;   in Loop: Header=BB4_352 Depth=1
	s_wait_xcnt 0x0
	s_add_nc_u64 s[0:1], s[10:11], 8
                                        ; implicit-def: $vgpr20_vgpr21
	s_mov_b32 s16, 0
.LBB4_379:                              ;   in Loop: Header=BB4_352 Depth=1
	global_load_b64 v[20:21], v13, s[10:11]
	s_add_co_i32 s16, s15, -8
.LBB4_380:                              ;   in Loop: Header=BB4_352 Depth=1
	s_delay_alu instid0(SALU_CYCLE_1)
	s_cmp_gt_u32 s16, 7
	s_cbranch_scc1 .LBB4_385
; %bb.381:                              ;   in Loop: Header=BB4_352 Depth=1
	v_mov_b64_e32 v[22:23], 0
	s_cmp_eq_u32 s16, 0
	s_cbranch_scc1 .LBB4_384
; %bb.382:                              ;   in Loop: Header=BB4_352 Depth=1
	s_wait_xcnt 0x0
	s_mov_b64 s[10:11], 0
	s_mov_b64 s[12:13], 0
.LBB4_383:                              ;   Parent Loop BB4_352 Depth=1
                                        ; =>  This Inner Loop Header: Depth=2
	s_wait_xcnt 0x0
	s_add_nc_u64 s[18:19], s[0:1], s[12:13]
	s_add_nc_u64 s[12:13], s[12:13], 1
	global_load_u8 v1, v13, s[18:19]
	s_cmp_lg_u32 s16, s12
	s_wait_loadcnt 0x0
	v_and_b32_e32 v12, 0xffff, v1
	s_delay_alu instid0(VALU_DEP_1) | instskip(SKIP_1) | instid1(VALU_DEP_1)
	v_lshlrev_b64_e32 v[24:25], s10, v[12:13]
	s_add_nc_u64 s[10:11], s[10:11], 8
	v_or_b32_e32 v22, v24, v22
	s_delay_alu instid0(VALU_DEP_2)
	v_or_b32_e32 v23, v25, v23
	s_cbranch_scc1 .LBB4_383
.LBB4_384:                              ;   in Loop: Header=BB4_352 Depth=1
	s_wait_xcnt 0x0
	s_mov_b64 s[10:11], s[0:1]
	s_mov_b32 s15, 0
	s_cbranch_execz .LBB4_386
	s_branch .LBB4_387
.LBB4_385:                              ;   in Loop: Header=BB4_352 Depth=1
	s_wait_xcnt 0x0
	s_add_nc_u64 s[10:11], s[0:1], 8
	s_mov_b32 s15, 0
.LBB4_386:                              ;   in Loop: Header=BB4_352 Depth=1
	global_load_b64 v[22:23], v13, s[0:1]
	s_add_co_i32 s15, s16, -8
.LBB4_387:                              ;   in Loop: Header=BB4_352 Depth=1
	s_delay_alu instid0(SALU_CYCLE_1)
	s_cmp_gt_u32 s15, 7
	s_cbranch_scc1 .LBB4_392
; %bb.388:                              ;   in Loop: Header=BB4_352 Depth=1
	v_mov_b64_e32 v[24:25], 0
	s_cmp_eq_u32 s15, 0
	s_cbranch_scc1 .LBB4_391
; %bb.389:                              ;   in Loop: Header=BB4_352 Depth=1
	s_wait_xcnt 0x0
	s_mov_b64 s[0:1], 0
	s_mov_b64 s[12:13], 0
.LBB4_390:                              ;   Parent Loop BB4_352 Depth=1
                                        ; =>  This Inner Loop Header: Depth=2
	s_wait_xcnt 0x0
	s_add_nc_u64 s[16:17], s[10:11], s[12:13]
	s_add_nc_u64 s[12:13], s[12:13], 1
	global_load_u8 v1, v13, s[16:17]
	s_cmp_lg_u32 s15, s12
	s_wait_loadcnt 0x0
	v_and_b32_e32 v12, 0xffff, v1
	s_delay_alu instid0(VALU_DEP_1) | instskip(SKIP_1) | instid1(VALU_DEP_1)
	v_lshlrev_b64_e32 v[26:27], s0, v[12:13]
	s_add_nc_u64 s[0:1], s[0:1], 8
	v_or_b32_e32 v24, v26, v24
	s_delay_alu instid0(VALU_DEP_2)
	v_or_b32_e32 v25, v27, v25
	s_cbranch_scc1 .LBB4_390
.LBB4_391:                              ;   in Loop: Header=BB4_352 Depth=1
	s_wait_xcnt 0x0
	s_mov_b64 s[0:1], s[10:11]
	s_mov_b32 s16, 0
	s_cbranch_execz .LBB4_393
	s_branch .LBB4_394
.LBB4_392:                              ;   in Loop: Header=BB4_352 Depth=1
	s_wait_xcnt 0x0
	s_add_nc_u64 s[0:1], s[10:11], 8
                                        ; implicit-def: $vgpr24_vgpr25
	s_mov_b32 s16, 0
.LBB4_393:                              ;   in Loop: Header=BB4_352 Depth=1
	global_load_b64 v[24:25], v13, s[10:11]
	s_add_co_i32 s16, s15, -8
.LBB4_394:                              ;   in Loop: Header=BB4_352 Depth=1
	s_delay_alu instid0(SALU_CYCLE_1)
	s_cmp_gt_u32 s16, 7
	s_cbranch_scc1 .LBB4_399
; %bb.395:                              ;   in Loop: Header=BB4_352 Depth=1
	v_mov_b64_e32 v[26:27], 0
	s_cmp_eq_u32 s16, 0
	s_cbranch_scc1 .LBB4_398
; %bb.396:                              ;   in Loop: Header=BB4_352 Depth=1
	s_wait_xcnt 0x0
	s_mov_b64 s[10:11], 0
	s_mov_b64 s[12:13], s[0:1]
.LBB4_397:                              ;   Parent Loop BB4_352 Depth=1
                                        ; =>  This Inner Loop Header: Depth=2
	global_load_u8 v1, v13, s[12:13]
	s_add_co_i32 s16, s16, -1
	s_wait_xcnt 0x0
	s_add_nc_u64 s[12:13], s[12:13], 1
	s_cmp_lg_u32 s16, 0
	s_wait_loadcnt 0x0
	v_and_b32_e32 v12, 0xffff, v1
	s_delay_alu instid0(VALU_DEP_1) | instskip(SKIP_1) | instid1(VALU_DEP_1)
	v_lshlrev_b64_e32 v[28:29], s10, v[12:13]
	s_add_nc_u64 s[10:11], s[10:11], 8
	v_or_b32_e32 v26, v28, v26
	s_delay_alu instid0(VALU_DEP_2)
	v_or_b32_e32 v27, v29, v27
	s_cbranch_scc1 .LBB4_397
.LBB4_398:                              ;   in Loop: Header=BB4_352 Depth=1
	s_wait_xcnt 0x0
	s_cbranch_execz .LBB4_400
	s_branch .LBB4_401
.LBB4_399:                              ;   in Loop: Header=BB4_352 Depth=1
	s_wait_xcnt 0x0
.LBB4_400:                              ;   in Loop: Header=BB4_352 Depth=1
	global_load_b64 v[26:27], v13, s[0:1]
.LBB4_401:                              ;   in Loop: Header=BB4_352 Depth=1
	s_wait_xcnt 0x0
	v_readfirstlane_b32 s0, v3
	v_mov_b64_e32 v[32:33], 0
	s_delay_alu instid0(VALU_DEP_2)
	v_cmp_eq_u32_e64 s0, s0, v3
	s_and_saveexec_b32 s1, s0
	s_cbranch_execz .LBB4_407
; %bb.402:                              ;   in Loop: Header=BB4_352 Depth=1
	global_load_b64 v[30:31], v13, s[2:3] offset:24 scope:SCOPE_SYS
	s_wait_loadcnt 0x0
	global_inv scope:SCOPE_SYS
	s_clause 0x1
	global_load_b64 v[28:29], v13, s[2:3] offset:40
	global_load_b64 v[32:33], v13, s[2:3]
	s_mov_b32 s10, exec_lo
	s_wait_loadcnt 0x1
	v_and_b32_e32 v28, v28, v30
	v_and_b32_e32 v29, v29, v31
	s_delay_alu instid0(VALU_DEP_1) | instskip(SKIP_1) | instid1(VALU_DEP_1)
	v_mul_u64_e32 v[28:29], 24, v[28:29]
	s_wait_loadcnt 0x0
	v_add_nc_u64_e32 v[28:29], v[32:33], v[28:29]
	global_load_b64 v[28:29], v[28:29], off scope:SCOPE_SYS
	s_wait_xcnt 0x0
	s_wait_loadcnt 0x0
	global_atomic_cmpswap_b64 v[32:33], v13, v[28:31], s[2:3] offset:24 th:TH_ATOMIC_RETURN scope:SCOPE_SYS
	s_wait_loadcnt 0x0
	global_inv scope:SCOPE_SYS
	s_wait_xcnt 0x0
	v_cmpx_ne_u64_e64 v[32:33], v[30:31]
	s_cbranch_execz .LBB4_406
; %bb.403:                              ;   in Loop: Header=BB4_352 Depth=1
	s_mov_b32 s11, 0
.LBB4_404:                              ;   Parent Loop BB4_352 Depth=1
                                        ; =>  This Inner Loop Header: Depth=2
	s_sleep 1
	s_clause 0x1
	global_load_b64 v[28:29], v13, s[2:3] offset:40
	global_load_b64 v[34:35], v13, s[2:3]
	v_mov_b64_e32 v[30:31], v[32:33]
	s_wait_loadcnt 0x1
	s_delay_alu instid0(VALU_DEP_1) | instskip(SKIP_1) | instid1(VALU_DEP_1)
	v_and_b32_e32 v1, v28, v30
	s_wait_loadcnt 0x0
	v_mad_nc_u64_u32 v[32:33], v1, 24, v[34:35]
	s_delay_alu instid0(VALU_DEP_3) | instskip(NEXT) | instid1(VALU_DEP_1)
	v_and_b32_e32 v1, v29, v31
	v_mad_u32 v33, v1, 24, v33
	global_load_b64 v[28:29], v[32:33], off scope:SCOPE_SYS
	s_wait_xcnt 0x0
	s_wait_loadcnt 0x0
	global_atomic_cmpswap_b64 v[32:33], v13, v[28:31], s[2:3] offset:24 th:TH_ATOMIC_RETURN scope:SCOPE_SYS
	s_wait_loadcnt 0x0
	global_inv scope:SCOPE_SYS
	v_cmp_eq_u64_e32 vcc_lo, v[32:33], v[30:31]
	s_or_b32 s11, vcc_lo, s11
	s_wait_xcnt 0x0
	s_and_not1_b32 exec_lo, exec_lo, s11
	s_cbranch_execnz .LBB4_404
; %bb.405:                              ;   in Loop: Header=BB4_352 Depth=1
	s_or_b32 exec_lo, exec_lo, s11
.LBB4_406:                              ;   in Loop: Header=BB4_352 Depth=1
	s_delay_alu instid0(SALU_CYCLE_1)
	s_or_b32 exec_lo, exec_lo, s10
.LBB4_407:                              ;   in Loop: Header=BB4_352 Depth=1
	s_delay_alu instid0(SALU_CYCLE_1)
	s_or_b32 exec_lo, exec_lo, s1
	s_clause 0x1
	global_load_b64 v[34:35], v13, s[2:3] offset:40
	global_load_b128 v[28:31], v13, s[2:3]
	v_readfirstlane_b32 s10, v32
	v_readfirstlane_b32 s11, v33
	s_mov_b32 s1, exec_lo
	s_wait_loadcnt 0x1
	v_and_b32_e32 v34, s10, v34
	v_and_b32_e32 v35, s11, v35
	s_delay_alu instid0(VALU_DEP_1) | instskip(SKIP_1) | instid1(VALU_DEP_1)
	v_mul_u64_e32 v[32:33], 24, v[34:35]
	s_wait_loadcnt 0x0
	v_add_nc_u64_e32 v[32:33], v[28:29], v[32:33]
	s_wait_xcnt 0x0
	s_and_saveexec_b32 s12, s0
	s_cbranch_execz .LBB4_409
; %bb.408:                              ;   in Loop: Header=BB4_352 Depth=1
	v_mov_b32_e32 v12, s1
	global_store_b128 v[32:33], v[12:15], off offset:8
.LBB4_409:                              ;   in Loop: Header=BB4_352 Depth=1
	s_wait_xcnt 0x0
	s_or_b32 exec_lo, exec_lo, s12
	v_cmp_lt_u64_e64 vcc_lo, s[6:7], 57
	v_lshlrev_b64_e32 v[34:35], 12, v[34:35]
	v_and_b32_e32 v5, 0xffffff1f, v8
	s_lshl_b32 s1, s8, 2
	s_delay_alu instid0(SALU_CYCLE_1) | instskip(SKIP_1) | instid1(VALU_DEP_3)
	s_add_co_i32 s1, s1, 28
	v_cndmask_b32_e32 v1, 0, v0, vcc_lo
	v_add_nc_u64_e32 v[30:31], v[30:31], v[34:35]
	s_delay_alu instid0(VALU_DEP_2) | instskip(NEXT) | instid1(VALU_DEP_2)
	v_or_b32_e32 v1, v5, v1
	v_readfirstlane_b32 s12, v30
	s_delay_alu instid0(VALU_DEP_3) | instskip(NEXT) | instid1(VALU_DEP_3)
	v_readfirstlane_b32 s13, v31
	v_and_or_b32 v8, 0x1e0, s1, v1
	s_clause 0x3
	global_store_b128 v4, v[8:11], s[12:13]
	global_store_b128 v4, v[16:19], s[12:13] offset:16
	global_store_b128 v4, v[20:23], s[12:13] offset:32
	;; [unrolled: 1-line block ×3, first 2 shown]
	s_wait_xcnt 0x0
	s_and_saveexec_b32 s1, s0
	s_cbranch_execz .LBB4_417
; %bb.410:                              ;   in Loop: Header=BB4_352 Depth=1
	s_clause 0x1
	global_load_b64 v[20:21], v13, s[2:3] offset:32 scope:SCOPE_SYS
	global_load_b64 v[8:9], v13, s[2:3] offset:40
	s_mov_b32 s12, exec_lo
	v_dual_mov_b32 v18, s10 :: v_dual_mov_b32 v19, s11
	s_wait_loadcnt 0x0
	v_and_b32_e32 v9, s11, v9
	v_and_b32_e32 v8, s10, v8
	s_delay_alu instid0(VALU_DEP_1) | instskip(NEXT) | instid1(VALU_DEP_1)
	v_mul_u64_e32 v[8:9], 24, v[8:9]
	v_add_nc_u64_e32 v[16:17], v[28:29], v[8:9]
	global_store_b64 v[16:17], v[20:21], off
	global_wb scope:SCOPE_SYS
	s_wait_storecnt 0x0
	s_wait_xcnt 0x0
	global_atomic_cmpswap_b64 v[10:11], v13, v[18:21], s[2:3] offset:32 th:TH_ATOMIC_RETURN scope:SCOPE_SYS
	s_wait_loadcnt 0x0
	v_cmpx_ne_u64_e64 v[10:11], v[20:21]
	s_cbranch_execz .LBB4_413
; %bb.411:                              ;   in Loop: Header=BB4_352 Depth=1
	s_mov_b32 s13, 0
.LBB4_412:                              ;   Parent Loop BB4_352 Depth=1
                                        ; =>  This Inner Loop Header: Depth=2
	v_dual_mov_b32 v8, s10 :: v_dual_mov_b32 v9, s11
	s_sleep 1
	global_store_b64 v[16:17], v[10:11], off
	global_wb scope:SCOPE_SYS
	s_wait_storecnt 0x0
	s_wait_xcnt 0x0
	global_atomic_cmpswap_b64 v[8:9], v13, v[8:11], s[2:3] offset:32 th:TH_ATOMIC_RETURN scope:SCOPE_SYS
	s_wait_loadcnt 0x0
	v_cmp_eq_u64_e32 vcc_lo, v[8:9], v[10:11]
	v_mov_b64_e32 v[10:11], v[8:9]
	s_or_b32 s13, vcc_lo, s13
	s_delay_alu instid0(SALU_CYCLE_1)
	s_and_not1_b32 exec_lo, exec_lo, s13
	s_cbranch_execnz .LBB4_412
.LBB4_413:                              ;   in Loop: Header=BB4_352 Depth=1
	s_or_b32 exec_lo, exec_lo, s12
	global_load_b64 v[8:9], v13, s[2:3] offset:16
	s_mov_b32 s13, exec_lo
	s_mov_b32 s12, exec_lo
	v_mbcnt_lo_u32_b32 v1, s13, 0
	s_wait_xcnt 0x0
	s_delay_alu instid0(VALU_DEP_1)
	v_cmpx_eq_u32_e32 0, v1
	s_cbranch_execz .LBB4_415
; %bb.414:                              ;   in Loop: Header=BB4_352 Depth=1
	s_bcnt1_i32_b32 s13, s13
	s_delay_alu instid0(SALU_CYCLE_1)
	v_mov_b32_e32 v12, s13
	global_wb scope:SCOPE_SYS
	s_wait_loadcnt 0x0
	s_wait_storecnt 0x0
	global_atomic_add_u64 v[8:9], v[12:13], off offset:8 scope:SCOPE_SYS
.LBB4_415:                              ;   in Loop: Header=BB4_352 Depth=1
	s_wait_xcnt 0x0
	s_or_b32 exec_lo, exec_lo, s12
	s_wait_loadcnt 0x0
	global_load_b64 v[10:11], v[8:9], off offset:16
	s_wait_loadcnt 0x0
	v_cmp_eq_u64_e32 vcc_lo, 0, v[10:11]
	s_cbranch_vccnz .LBB4_417
; %bb.416:                              ;   in Loop: Header=BB4_352 Depth=1
	global_load_b32 v12, v[8:9], off offset:24
	s_wait_loadcnt 0x0
	v_readfirstlane_b32 s12, v12
	global_wb scope:SCOPE_SYS
	s_wait_storecnt 0x0
	s_wait_xcnt 0x0
	global_store_b64 v[10:11], v[12:13], off scope:SCOPE_SYS
	s_and_b32 m0, s12, 0xffffff
	s_sendmsg sendmsg(MSG_INTERRUPT)
.LBB4_417:                              ;   in Loop: Header=BB4_352 Depth=1
	s_wait_xcnt 0x0
	s_or_b32 exec_lo, exec_lo, s1
	v_mov_b32_e32 v5, v13
	s_delay_alu instid0(VALU_DEP_1)
	v_add_nc_u64_e32 v[8:9], v[30:31], v[4:5]
	s_branch .LBB4_421
.LBB4_418:                              ;   in Loop: Header=BB4_421 Depth=2
	s_wait_xcnt 0x0
	s_or_b32 exec_lo, exec_lo, s1
	s_delay_alu instid0(VALU_DEP_1)
	v_readfirstlane_b32 s1, v1
	s_cmp_eq_u32 s1, 0
	s_cbranch_scc1 .LBB4_420
; %bb.419:                              ;   in Loop: Header=BB4_421 Depth=2
	s_sleep 1
	s_cbranch_execnz .LBB4_421
	s_branch .LBB4_423
.LBB4_420:                              ;   in Loop: Header=BB4_352 Depth=1
	s_branch .LBB4_423
.LBB4_421:                              ;   Parent Loop BB4_352 Depth=1
                                        ; =>  This Inner Loop Header: Depth=2
	v_mov_b32_e32 v1, 1
	s_and_saveexec_b32 s1, s0
	s_cbranch_execz .LBB4_418
; %bb.422:                              ;   in Loop: Header=BB4_421 Depth=2
	global_load_b32 v1, v[32:33], off offset:20 scope:SCOPE_SYS
	s_wait_loadcnt 0x0
	global_inv scope:SCOPE_SYS
	v_and_b32_e32 v1, 1, v1
	s_branch .LBB4_418
.LBB4_423:                              ;   in Loop: Header=BB4_352 Depth=1
	global_load_b64 v[8:9], v[8:9], off
	s_wait_xcnt 0x0
	s_and_saveexec_b32 s12, s0
	s_cbranch_execz .LBB4_351
; %bb.424:                              ;   in Loop: Header=BB4_352 Depth=1
	s_clause 0x2
	global_load_b64 v[10:11], v13, s[2:3] offset:40
	global_load_b64 v[20:21], v13, s[2:3] offset:24 scope:SCOPE_SYS
	global_load_b64 v[16:17], v13, s[2:3]
	s_wait_loadcnt 0x2
	v_readfirstlane_b32 s16, v10
	v_readfirstlane_b32 s17, v11
	s_add_nc_u64 s[0:1], s[16:17], 1
	s_delay_alu instid0(SALU_CYCLE_1) | instskip(NEXT) | instid1(SALU_CYCLE_1)
	s_add_nc_u64 s[10:11], s[0:1], s[10:11]
	s_cmp_eq_u64 s[10:11], 0
	s_cselect_b32 s1, s1, s11
	s_cselect_b32 s0, s0, s10
	s_delay_alu instid0(SALU_CYCLE_1) | instskip(SKIP_1) | instid1(SALU_CYCLE_1)
	v_dual_mov_b32 v19, s1 :: v_dual_mov_b32 v18, s0
	s_and_b64 s[10:11], s[0:1], s[16:17]
	s_mul_u64 s[10:11], s[10:11], 24
	s_wait_loadcnt 0x0
	v_add_nc_u64_e32 v[10:11], s[10:11], v[16:17]
	global_store_b64 v[10:11], v[20:21], off
	global_wb scope:SCOPE_SYS
	s_wait_storecnt 0x0
	s_wait_xcnt 0x0
	global_atomic_cmpswap_b64 v[18:19], v13, v[18:21], s[2:3] offset:24 th:TH_ATOMIC_RETURN scope:SCOPE_SYS
	s_wait_loadcnt 0x0
	v_cmp_ne_u64_e32 vcc_lo, v[18:19], v[20:21]
	s_and_b32 exec_lo, exec_lo, vcc_lo
	s_cbranch_execz .LBB4_351
; %bb.425:                              ;   in Loop: Header=BB4_352 Depth=1
	s_mov_b32 s10, 0
.LBB4_426:                              ;   Parent Loop BB4_352 Depth=1
                                        ; =>  This Inner Loop Header: Depth=2
	v_dual_mov_b32 v16, s0 :: v_dual_mov_b32 v17, s1
	s_sleep 1
	global_store_b64 v[10:11], v[18:19], off
	global_wb scope:SCOPE_SYS
	s_wait_storecnt 0x0
	s_wait_xcnt 0x0
	global_atomic_cmpswap_b64 v[16:17], v13, v[16:19], s[2:3] offset:24 th:TH_ATOMIC_RETURN scope:SCOPE_SYS
	s_wait_loadcnt 0x0
	v_cmp_eq_u64_e32 vcc_lo, v[16:17], v[18:19]
	v_mov_b64_e32 v[18:19], v[16:17]
	s_or_b32 s10, vcc_lo, s10
	s_delay_alu instid0(SALU_CYCLE_1)
	s_and_not1_b32 exec_lo, exec_lo, s10
	s_cbranch_execnz .LBB4_426
	s_branch .LBB4_351
.LBB4_427:
	s_branch .LBB4_456
.LBB4_428:
                                        ; implicit-def: $vgpr8_vgpr9
	s_cbranch_execz .LBB4_456
; %bb.429:
	v_readfirstlane_b32 s0, v3
	v_mov_b64_e32 v[0:1], 0
	s_delay_alu instid0(VALU_DEP_2)
	v_cmp_eq_u32_e64 s0, s0, v3
	s_and_saveexec_b32 s1, s0
	s_cbranch_execz .LBB4_435
; %bb.430:
	v_mov_b32_e32 v5, 0
	s_mov_b32 s4, exec_lo
	global_load_b64 v[10:11], v5, s[2:3] offset:24 scope:SCOPE_SYS
	s_wait_loadcnt 0x0
	global_inv scope:SCOPE_SYS
	s_clause 0x1
	global_load_b64 v[0:1], v5, s[2:3] offset:40
	global_load_b64 v[8:9], v5, s[2:3]
	s_wait_loadcnt 0x1
	v_and_b32_e32 v0, v0, v10
	v_and_b32_e32 v1, v1, v11
	s_delay_alu instid0(VALU_DEP_1) | instskip(SKIP_1) | instid1(VALU_DEP_1)
	v_mul_u64_e32 v[0:1], 24, v[0:1]
	s_wait_loadcnt 0x0
	v_add_nc_u64_e32 v[0:1], v[8:9], v[0:1]
	global_load_b64 v[8:9], v[0:1], off scope:SCOPE_SYS
	s_wait_xcnt 0x0
	s_wait_loadcnt 0x0
	global_atomic_cmpswap_b64 v[0:1], v5, v[8:11], s[2:3] offset:24 th:TH_ATOMIC_RETURN scope:SCOPE_SYS
	s_wait_loadcnt 0x0
	global_inv scope:SCOPE_SYS
	s_wait_xcnt 0x0
	v_cmpx_ne_u64_e64 v[0:1], v[10:11]
	s_cbranch_execz .LBB4_434
; %bb.431:
	s_mov_b32 s5, 0
.LBB4_432:                              ; =>This Inner Loop Header: Depth=1
	s_sleep 1
	s_clause 0x1
	global_load_b64 v[8:9], v5, s[2:3] offset:40
	global_load_b64 v[12:13], v5, s[2:3]
	v_mov_b64_e32 v[10:11], v[0:1]
	s_wait_loadcnt 0x1
	s_delay_alu instid0(VALU_DEP_1) | instskip(NEXT) | instid1(VALU_DEP_2)
	v_and_b32_e32 v0, v8, v10
	v_and_b32_e32 v8, v9, v11
	s_wait_loadcnt 0x0
	s_delay_alu instid0(VALU_DEP_2) | instskip(NEXT) | instid1(VALU_DEP_1)
	v_mad_nc_u64_u32 v[0:1], v0, 24, v[12:13]
	v_mad_u32 v1, v8, 24, v1
	global_load_b64 v[8:9], v[0:1], off scope:SCOPE_SYS
	s_wait_xcnt 0x0
	s_wait_loadcnt 0x0
	global_atomic_cmpswap_b64 v[0:1], v5, v[8:11], s[2:3] offset:24 th:TH_ATOMIC_RETURN scope:SCOPE_SYS
	s_wait_loadcnt 0x0
	global_inv scope:SCOPE_SYS
	v_cmp_eq_u64_e32 vcc_lo, v[0:1], v[10:11]
	s_or_b32 s5, vcc_lo, s5
	s_wait_xcnt 0x0
	s_and_not1_b32 exec_lo, exec_lo, s5
	s_cbranch_execnz .LBB4_432
; %bb.433:
	s_or_b32 exec_lo, exec_lo, s5
.LBB4_434:
	s_delay_alu instid0(SALU_CYCLE_1)
	s_or_b32 exec_lo, exec_lo, s4
.LBB4_435:
	s_delay_alu instid0(SALU_CYCLE_1)
	s_or_b32 exec_lo, exec_lo, s1
	v_readfirstlane_b32 s4, v0
	v_mov_b32_e32 v5, 0
	v_readfirstlane_b32 s5, v1
	s_mov_b32 s1, exec_lo
	s_wait_loadcnt 0x0
	s_clause 0x1
	global_load_b64 v[8:9], v5, s[2:3] offset:40
	global_load_b128 v[10:13], v5, s[2:3]
	s_wait_loadcnt 0x1
	v_and_b32_e32 v8, s4, v8
	v_and_b32_e32 v9, s5, v9
	s_delay_alu instid0(VALU_DEP_1) | instskip(SKIP_1) | instid1(VALU_DEP_1)
	v_mul_u64_e32 v[0:1], 24, v[8:9]
	s_wait_loadcnt 0x0
	v_add_nc_u64_e32 v[0:1], v[10:11], v[0:1]
	s_wait_xcnt 0x0
	s_and_saveexec_b32 s6, s0
	s_cbranch_execz .LBB4_437
; %bb.436:
	v_mov_b64_e32 v[16:17], 0x100000002
	v_dual_mov_b32 v14, s1 :: v_dual_mov_b32 v15, v5
	global_store_b128 v[0:1], v[14:17], off offset:8
.LBB4_437:
	s_wait_xcnt 0x0
	s_or_b32 exec_lo, exec_lo, s6
	v_lshlrev_b64_e32 v[8:9], 12, v[8:9]
	s_mov_b32 s8, 0
	v_and_or_b32 v6, 0xffffff1f, v6, 32
	s_mov_b32 s10, s8
	s_mov_b32 s11, s8
	;; [unrolled: 1-line block ×3, first 2 shown]
	v_mov_b64_e32 v[16:17], s[10:11]
	v_add_nc_u64_e32 v[12:13], v[12:13], v[8:9]
	v_mov_b64_e32 v[14:15], s[8:9]
	v_dual_mov_b32 v8, v5 :: v_dual_mov_b32 v9, v5
	s_delay_alu instid0(VALU_DEP_3) | instskip(NEXT) | instid1(VALU_DEP_4)
	v_readfirstlane_b32 s6, v12
	v_readfirstlane_b32 s7, v13
	s_clause 0x3
	global_store_b128 v4, v[6:9], s[6:7]
	global_store_b128 v4, v[14:17], s[6:7] offset:16
	global_store_b128 v4, v[14:17], s[6:7] offset:32
	;; [unrolled: 1-line block ×3, first 2 shown]
	s_wait_xcnt 0x0
	s_and_saveexec_b32 s1, s0
	s_cbranch_execz .LBB4_445
; %bb.438:
	v_dual_mov_b32 v14, 0 :: v_dual_mov_b32 v17, s5
	s_mov_b32 s6, exec_lo
	s_clause 0x1
	global_load_b64 v[18:19], v14, s[2:3] offset:32 scope:SCOPE_SYS
	global_load_b64 v[6:7], v14, s[2:3] offset:40
	s_wait_loadcnt 0x0
	v_dual_mov_b32 v16, s4 :: v_dual_bitop2_b32 v7, s5, v7 bitop3:0x40
	v_and_b32_e32 v6, s4, v6
	s_delay_alu instid0(VALU_DEP_1) | instskip(NEXT) | instid1(VALU_DEP_1)
	v_mul_u64_e32 v[6:7], 24, v[6:7]
	v_add_nc_u64_e32 v[10:11], v[10:11], v[6:7]
	global_store_b64 v[10:11], v[18:19], off
	global_wb scope:SCOPE_SYS
	s_wait_storecnt 0x0
	s_wait_xcnt 0x0
	global_atomic_cmpswap_b64 v[8:9], v14, v[16:19], s[2:3] offset:32 th:TH_ATOMIC_RETURN scope:SCOPE_SYS
	s_wait_loadcnt 0x0
	v_cmpx_ne_u64_e64 v[8:9], v[18:19]
	s_cbranch_execz .LBB4_441
; %bb.439:
	s_mov_b32 s7, 0
.LBB4_440:                              ; =>This Inner Loop Header: Depth=1
	v_dual_mov_b32 v6, s4 :: v_dual_mov_b32 v7, s5
	s_sleep 1
	global_store_b64 v[10:11], v[8:9], off
	global_wb scope:SCOPE_SYS
	s_wait_storecnt 0x0
	s_wait_xcnt 0x0
	global_atomic_cmpswap_b64 v[6:7], v14, v[6:9], s[2:3] offset:32 th:TH_ATOMIC_RETURN scope:SCOPE_SYS
	s_wait_loadcnt 0x0
	v_cmp_eq_u64_e32 vcc_lo, v[6:7], v[8:9]
	v_mov_b64_e32 v[8:9], v[6:7]
	s_or_b32 s7, vcc_lo, s7
	s_delay_alu instid0(SALU_CYCLE_1)
	s_and_not1_b32 exec_lo, exec_lo, s7
	s_cbranch_execnz .LBB4_440
.LBB4_441:
	s_or_b32 exec_lo, exec_lo, s6
	v_mov_b32_e32 v9, 0
	s_mov_b32 s7, exec_lo
	s_mov_b32 s6, exec_lo
	v_mbcnt_lo_u32_b32 v8, s7, 0
	global_load_b64 v[6:7], v9, s[2:3] offset:16
	s_wait_xcnt 0x0
	v_cmpx_eq_u32_e32 0, v8
	s_cbranch_execz .LBB4_443
; %bb.442:
	s_bcnt1_i32_b32 s7, s7
	s_delay_alu instid0(SALU_CYCLE_1)
	v_mov_b32_e32 v8, s7
	global_wb scope:SCOPE_SYS
	s_wait_loadcnt 0x0
	s_wait_storecnt 0x0
	global_atomic_add_u64 v[6:7], v[8:9], off offset:8 scope:SCOPE_SYS
.LBB4_443:
	s_wait_xcnt 0x0
	s_or_b32 exec_lo, exec_lo, s6
	s_wait_loadcnt 0x0
	global_load_b64 v[8:9], v[6:7], off offset:16
	s_wait_loadcnt 0x0
	v_cmp_eq_u64_e32 vcc_lo, 0, v[8:9]
	s_cbranch_vccnz .LBB4_445
; %bb.444:
	global_load_b32 v6, v[6:7], off offset:24
	s_wait_xcnt 0x0
	v_mov_b32_e32 v7, 0
	s_wait_loadcnt 0x0
	v_readfirstlane_b32 s6, v6
	global_wb scope:SCOPE_SYS
	s_wait_storecnt 0x0
	global_store_b64 v[8:9], v[6:7], off scope:SCOPE_SYS
	s_and_b32 m0, s6, 0xffffff
	s_sendmsg sendmsg(MSG_INTERRUPT)
.LBB4_445:
	s_wait_xcnt 0x0
	s_or_b32 exec_lo, exec_lo, s1
	v_add_nc_u64_e32 v[6:7], v[12:13], v[4:5]
	s_branch .LBB4_449
.LBB4_446:                              ;   in Loop: Header=BB4_449 Depth=1
	s_wait_xcnt 0x0
	s_or_b32 exec_lo, exec_lo, s1
	s_delay_alu instid0(VALU_DEP_1)
	v_readfirstlane_b32 s1, v5
	s_cmp_eq_u32 s1, 0
	s_cbranch_scc1 .LBB4_448
; %bb.447:                              ;   in Loop: Header=BB4_449 Depth=1
	s_sleep 1
	s_cbranch_execnz .LBB4_449
	s_branch .LBB4_451
.LBB4_448:
	s_branch .LBB4_451
.LBB4_449:                              ; =>This Inner Loop Header: Depth=1
	v_mov_b32_e32 v5, 1
	s_and_saveexec_b32 s1, s0
	s_cbranch_execz .LBB4_446
; %bb.450:                              ;   in Loop: Header=BB4_449 Depth=1
	global_load_b32 v5, v[0:1], off offset:20 scope:SCOPE_SYS
	s_wait_loadcnt 0x0
	global_inv scope:SCOPE_SYS
	v_and_b32_e32 v5, 1, v5
	s_branch .LBB4_446
.LBB4_451:
	global_load_b64 v[8:9], v[6:7], off
	s_wait_xcnt 0x0
	s_and_saveexec_b32 s6, s0
	s_cbranch_execz .LBB4_455
; %bb.452:
	v_mov_b32_e32 v5, 0
	s_clause 0x2
	global_load_b64 v[0:1], v5, s[2:3] offset:40
	global_load_b64 v[14:15], v5, s[2:3] offset:24 scope:SCOPE_SYS
	global_load_b64 v[6:7], v5, s[2:3]
	s_wait_loadcnt 0x2
	v_readfirstlane_b32 s8, v0
	v_readfirstlane_b32 s9, v1
	s_add_nc_u64 s[0:1], s[8:9], 1
	s_delay_alu instid0(SALU_CYCLE_1) | instskip(NEXT) | instid1(SALU_CYCLE_1)
	s_add_nc_u64 s[4:5], s[0:1], s[4:5]
	s_cmp_eq_u64 s[4:5], 0
	s_cselect_b32 s1, s1, s5
	s_cselect_b32 s0, s0, s4
	v_mov_b32_e32 v13, s1
	s_and_b64 s[4:5], s[0:1], s[8:9]
	v_mov_b32_e32 v12, s0
	s_mul_u64 s[4:5], s[4:5], 24
	s_wait_loadcnt 0x0
	v_add_nc_u64_e32 v[0:1], s[4:5], v[6:7]
	global_store_b64 v[0:1], v[14:15], off
	global_wb scope:SCOPE_SYS
	s_wait_storecnt 0x0
	s_wait_xcnt 0x0
	global_atomic_cmpswap_b64 v[12:13], v5, v[12:15], s[2:3] offset:24 th:TH_ATOMIC_RETURN scope:SCOPE_SYS
	s_wait_loadcnt 0x0
	v_cmp_ne_u64_e32 vcc_lo, v[12:13], v[14:15]
	s_and_b32 exec_lo, exec_lo, vcc_lo
	s_cbranch_execz .LBB4_455
; %bb.453:
	s_mov_b32 s4, 0
.LBB4_454:                              ; =>This Inner Loop Header: Depth=1
	v_dual_mov_b32 v10, s0 :: v_dual_mov_b32 v11, s1
	s_sleep 1
	global_store_b64 v[0:1], v[12:13], off
	global_wb scope:SCOPE_SYS
	s_wait_storecnt 0x0
	s_wait_xcnt 0x0
	global_atomic_cmpswap_b64 v[6:7], v5, v[10:13], s[2:3] offset:24 th:TH_ATOMIC_RETURN scope:SCOPE_SYS
	s_wait_loadcnt 0x0
	v_cmp_eq_u64_e32 vcc_lo, v[6:7], v[12:13]
	v_mov_b64_e32 v[12:13], v[6:7]
	s_or_b32 s4, vcc_lo, s4
	s_delay_alu instid0(SALU_CYCLE_1)
	s_and_not1_b32 exec_lo, exec_lo, s4
	s_cbranch_execnz .LBB4_454
.LBB4_455:
	s_or_b32 exec_lo, exec_lo, s6
.LBB4_456:
	v_readfirstlane_b32 s0, v3
	v_mov_b64_e32 v[0:1], 0
	s_delay_alu instid0(VALU_DEP_2)
	v_cmp_eq_u32_e64 s0, s0, v3
	s_and_saveexec_b32 s1, s0
	s_cbranch_execz .LBB4_462
; %bb.457:
	v_mov_b32_e32 v5, 0
	s_mov_b32 s4, exec_lo
	global_load_b64 v[12:13], v5, s[2:3] offset:24 scope:SCOPE_SYS
	s_wait_loadcnt 0x0
	global_inv scope:SCOPE_SYS
	s_clause 0x1
	global_load_b64 v[0:1], v5, s[2:3] offset:40
	global_load_b64 v[6:7], v5, s[2:3]
	s_wait_loadcnt 0x1
	v_and_b32_e32 v0, v0, v12
	v_and_b32_e32 v1, v1, v13
	s_delay_alu instid0(VALU_DEP_1) | instskip(SKIP_1) | instid1(VALU_DEP_1)
	v_mul_u64_e32 v[0:1], 24, v[0:1]
	s_wait_loadcnt 0x0
	v_add_nc_u64_e32 v[0:1], v[6:7], v[0:1]
	global_load_b64 v[10:11], v[0:1], off scope:SCOPE_SYS
	s_wait_xcnt 0x0
	s_wait_loadcnt 0x0
	global_atomic_cmpswap_b64 v[0:1], v5, v[10:13], s[2:3] offset:24 th:TH_ATOMIC_RETURN scope:SCOPE_SYS
	s_wait_loadcnt 0x0
	global_inv scope:SCOPE_SYS
	s_wait_xcnt 0x0
	v_cmpx_ne_u64_e64 v[0:1], v[12:13]
	s_cbranch_execz .LBB4_461
; %bb.458:
	s_mov_b32 s5, 0
.LBB4_459:                              ; =>This Inner Loop Header: Depth=1
	s_sleep 1
	s_clause 0x1
	global_load_b64 v[6:7], v5, s[2:3] offset:40
	global_load_b64 v[10:11], v5, s[2:3]
	v_mov_b64_e32 v[12:13], v[0:1]
	s_wait_loadcnt 0x1
	s_delay_alu instid0(VALU_DEP_1) | instskip(NEXT) | instid1(VALU_DEP_2)
	v_and_b32_e32 v0, v6, v12
	v_and_b32_e32 v6, v7, v13
	s_wait_loadcnt 0x0
	s_delay_alu instid0(VALU_DEP_2) | instskip(NEXT) | instid1(VALU_DEP_1)
	v_mad_nc_u64_u32 v[0:1], v0, 24, v[10:11]
	v_mad_u32 v1, v6, 24, v1
	global_load_b64 v[10:11], v[0:1], off scope:SCOPE_SYS
	s_wait_xcnt 0x0
	s_wait_loadcnt 0x0
	global_atomic_cmpswap_b64 v[0:1], v5, v[10:13], s[2:3] offset:24 th:TH_ATOMIC_RETURN scope:SCOPE_SYS
	s_wait_loadcnt 0x0
	global_inv scope:SCOPE_SYS
	v_cmp_eq_u64_e32 vcc_lo, v[0:1], v[12:13]
	s_or_b32 s5, vcc_lo, s5
	s_wait_xcnt 0x0
	s_and_not1_b32 exec_lo, exec_lo, s5
	s_cbranch_execnz .LBB4_459
; %bb.460:
	s_or_b32 exec_lo, exec_lo, s5
.LBB4_461:
	s_delay_alu instid0(SALU_CYCLE_1)
	s_or_b32 exec_lo, exec_lo, s4
.LBB4_462:
	s_delay_alu instid0(SALU_CYCLE_1)
	s_or_b32 exec_lo, exec_lo, s1
	v_readfirstlane_b32 s4, v0
	v_mov_b32_e32 v5, 0
	v_readfirstlane_b32 s5, v1
	s_mov_b32 s1, exec_lo
	s_wait_loadcnt 0x0
	s_clause 0x1
	global_load_b64 v[6:7], v5, s[2:3] offset:40
	global_load_b128 v[12:15], v5, s[2:3]
	s_wait_loadcnt 0x1
	v_and_b32_e32 v6, s4, v6
	v_and_b32_e32 v7, s5, v7
	s_delay_alu instid0(VALU_DEP_1) | instskip(SKIP_1) | instid1(VALU_DEP_1)
	v_mul_u64_e32 v[0:1], 24, v[6:7]
	s_wait_loadcnt 0x0
	v_add_nc_u64_e32 v[0:1], v[12:13], v[0:1]
	s_wait_xcnt 0x0
	s_and_saveexec_b32 s6, s0
	s_cbranch_execz .LBB4_464
; %bb.463:
	v_mov_b64_e32 v[18:19], 0x100000002
	v_dual_mov_b32 v16, s1 :: v_dual_mov_b32 v17, v5
	global_store_b128 v[0:1], v[16:19], off offset:8
.LBB4_464:
	s_wait_xcnt 0x0
	s_or_b32 exec_lo, exec_lo, s6
	v_lshlrev_b64_e32 v[6:7], 12, v[6:7]
	s_mov_b32 s8, 0
	s_bcnt1_i32_b32 s1, s14
	s_mov_b32 s10, s8
	s_mov_b32 s11, s8
	;; [unrolled: 1-line block ×3, first 2 shown]
	v_mov_b64_e32 v[18:19], s[10:11]
	v_add_nc_u64_e32 v[14:15], v[14:15], v[6:7]
	v_mov_b64_e32 v[16:17], s[8:9]
	v_and_or_b32 v8, 0xffffff1f, v8, 32
	v_dual_mov_b32 v11, v5 :: v_dual_mov_b32 v10, s1
	s_delay_alu instid0(VALU_DEP_4)
	v_readfirstlane_b32 s6, v14
	v_readfirstlane_b32 s7, v15
	s_clause 0x3
	global_store_b128 v4, v[8:11], s[6:7]
	global_store_b128 v4, v[16:19], s[6:7] offset:16
	global_store_b128 v4, v[16:19], s[6:7] offset:32
	;; [unrolled: 1-line block ×3, first 2 shown]
	s_wait_xcnt 0x0
	s_and_saveexec_b32 s1, s0
	s_cbranch_execz .LBB4_472
; %bb.465:
	v_dual_mov_b32 v16, 0 :: v_dual_mov_b32 v19, s5
	s_mov_b32 s6, exec_lo
	s_clause 0x1
	global_load_b64 v[20:21], v16, s[2:3] offset:32 scope:SCOPE_SYS
	global_load_b64 v[6:7], v16, s[2:3] offset:40
	s_wait_loadcnt 0x0
	v_dual_mov_b32 v18, s4 :: v_dual_bitop2_b32 v7, s5, v7 bitop3:0x40
	v_and_b32_e32 v6, s4, v6
	s_delay_alu instid0(VALU_DEP_1) | instskip(NEXT) | instid1(VALU_DEP_1)
	v_mul_u64_e32 v[6:7], 24, v[6:7]
	v_add_nc_u64_e32 v[10:11], v[12:13], v[6:7]
	global_store_b64 v[10:11], v[20:21], off
	global_wb scope:SCOPE_SYS
	s_wait_storecnt 0x0
	s_wait_xcnt 0x0
	global_atomic_cmpswap_b64 v[8:9], v16, v[18:21], s[2:3] offset:32 th:TH_ATOMIC_RETURN scope:SCOPE_SYS
	s_wait_loadcnt 0x0
	v_cmpx_ne_u64_e64 v[8:9], v[20:21]
	s_cbranch_execz .LBB4_468
; %bb.466:
	s_mov_b32 s7, 0
.LBB4_467:                              ; =>This Inner Loop Header: Depth=1
	v_dual_mov_b32 v6, s4 :: v_dual_mov_b32 v7, s5
	s_sleep 1
	global_store_b64 v[10:11], v[8:9], off
	global_wb scope:SCOPE_SYS
	s_wait_storecnt 0x0
	s_wait_xcnt 0x0
	global_atomic_cmpswap_b64 v[6:7], v16, v[6:9], s[2:3] offset:32 th:TH_ATOMIC_RETURN scope:SCOPE_SYS
	s_wait_loadcnt 0x0
	v_cmp_eq_u64_e32 vcc_lo, v[6:7], v[8:9]
	v_mov_b64_e32 v[8:9], v[6:7]
	s_or_b32 s7, vcc_lo, s7
	s_delay_alu instid0(SALU_CYCLE_1)
	s_and_not1_b32 exec_lo, exec_lo, s7
	s_cbranch_execnz .LBB4_467
.LBB4_468:
	s_or_b32 exec_lo, exec_lo, s6
	v_mov_b32_e32 v9, 0
	s_mov_b32 s7, exec_lo
	s_mov_b32 s6, exec_lo
	v_mbcnt_lo_u32_b32 v8, s7, 0
	global_load_b64 v[6:7], v9, s[2:3] offset:16
	s_wait_xcnt 0x0
	v_cmpx_eq_u32_e32 0, v8
	s_cbranch_execz .LBB4_470
; %bb.469:
	s_bcnt1_i32_b32 s7, s7
	s_delay_alu instid0(SALU_CYCLE_1)
	v_mov_b32_e32 v8, s7
	global_wb scope:SCOPE_SYS
	s_wait_loadcnt 0x0
	s_wait_storecnt 0x0
	global_atomic_add_u64 v[6:7], v[8:9], off offset:8 scope:SCOPE_SYS
.LBB4_470:
	s_wait_xcnt 0x0
	s_or_b32 exec_lo, exec_lo, s6
	s_wait_loadcnt 0x0
	global_load_b64 v[8:9], v[6:7], off offset:16
	s_wait_loadcnt 0x0
	v_cmp_eq_u64_e32 vcc_lo, 0, v[8:9]
	s_cbranch_vccnz .LBB4_472
; %bb.471:
	global_load_b32 v6, v[6:7], off offset:24
	s_wait_xcnt 0x0
	v_mov_b32_e32 v7, 0
	s_wait_loadcnt 0x0
	v_readfirstlane_b32 s6, v6
	global_wb scope:SCOPE_SYS
	s_wait_storecnt 0x0
	global_store_b64 v[8:9], v[6:7], off scope:SCOPE_SYS
	s_and_b32 m0, s6, 0xffffff
	s_sendmsg sendmsg(MSG_INTERRUPT)
.LBB4_472:
	s_wait_xcnt 0x0
	s_or_b32 exec_lo, exec_lo, s1
	v_add_nc_u64_e32 v[6:7], v[14:15], v[4:5]
	s_branch .LBB4_476
.LBB4_473:                              ;   in Loop: Header=BB4_476 Depth=1
	s_wait_xcnt 0x0
	s_or_b32 exec_lo, exec_lo, s1
	s_delay_alu instid0(VALU_DEP_1)
	v_readfirstlane_b32 s1, v5
	s_cmp_eq_u32 s1, 0
	s_cbranch_scc1 .LBB4_475
; %bb.474:                              ;   in Loop: Header=BB4_476 Depth=1
	s_sleep 1
	s_cbranch_execnz .LBB4_476
	s_branch .LBB4_478
.LBB4_475:
	s_branch .LBB4_478
.LBB4_476:                              ; =>This Inner Loop Header: Depth=1
	v_mov_b32_e32 v5, 1
	s_and_saveexec_b32 s1, s0
	s_cbranch_execz .LBB4_473
; %bb.477:                              ;   in Loop: Header=BB4_476 Depth=1
	global_load_b32 v5, v[0:1], off offset:20 scope:SCOPE_SYS
	s_wait_loadcnt 0x0
	global_inv scope:SCOPE_SYS
	v_and_b32_e32 v5, 1, v5
	s_branch .LBB4_473
.LBB4_478:
	global_load_b64 v[0:1], v[6:7], off
	s_wait_xcnt 0x0
	s_and_saveexec_b32 s6, s0
	s_cbranch_execz .LBB4_482
; %bb.479:
	v_mov_b32_e32 v5, 0
	s_clause 0x2
	global_load_b64 v[6:7], v5, s[2:3] offset:40
	global_load_b64 v[14:15], v5, s[2:3] offset:24 scope:SCOPE_SYS
	global_load_b64 v[8:9], v5, s[2:3]
	s_wait_loadcnt 0x2
	v_readfirstlane_b32 s8, v6
	v_readfirstlane_b32 s9, v7
	s_add_nc_u64 s[0:1], s[8:9], 1
	s_delay_alu instid0(SALU_CYCLE_1) | instskip(NEXT) | instid1(SALU_CYCLE_1)
	s_add_nc_u64 s[4:5], s[0:1], s[4:5]
	s_cmp_eq_u64 s[4:5], 0
	s_cselect_b32 s1, s1, s5
	s_cselect_b32 s0, s0, s4
	v_mov_b32_e32 v13, s1
	s_and_b64 s[4:5], s[0:1], s[8:9]
	v_mov_b32_e32 v12, s0
	s_mul_u64 s[4:5], s[4:5], 24
	s_wait_loadcnt 0x0
	v_add_nc_u64_e32 v[10:11], s[4:5], v[8:9]
	global_store_b64 v[10:11], v[14:15], off
	global_wb scope:SCOPE_SYS
	s_wait_storecnt 0x0
	s_wait_xcnt 0x0
	global_atomic_cmpswap_b64 v[8:9], v5, v[12:15], s[2:3] offset:24 th:TH_ATOMIC_RETURN scope:SCOPE_SYS
	s_wait_loadcnt 0x0
	v_cmp_ne_u64_e32 vcc_lo, v[8:9], v[14:15]
	s_and_b32 exec_lo, exec_lo, vcc_lo
	s_cbranch_execz .LBB4_482
; %bb.480:
	s_mov_b32 s4, 0
.LBB4_481:                              ; =>This Inner Loop Header: Depth=1
	v_dual_mov_b32 v6, s0 :: v_dual_mov_b32 v7, s1
	s_sleep 1
	global_store_b64 v[10:11], v[8:9], off
	global_wb scope:SCOPE_SYS
	s_wait_storecnt 0x0
	s_wait_xcnt 0x0
	global_atomic_cmpswap_b64 v[6:7], v5, v[6:9], s[2:3] offset:24 th:TH_ATOMIC_RETURN scope:SCOPE_SYS
	s_wait_loadcnt 0x0
	v_cmp_eq_u64_e32 vcc_lo, v[6:7], v[8:9]
	v_mov_b64_e32 v[8:9], v[6:7]
	s_or_b32 s4, vcc_lo, s4
	s_delay_alu instid0(SALU_CYCLE_1)
	s_and_not1_b32 exec_lo, exec_lo, s4
	s_cbranch_execnz .LBB4_481
.LBB4_482:
	s_or_b32 exec_lo, exec_lo, s6
	v_readfirstlane_b32 s0, v3
	v_mov_b64_e32 v[10:11], 0
	s_delay_alu instid0(VALU_DEP_2)
	v_cmp_eq_u32_e64 s0, s0, v3
	s_and_saveexec_b32 s1, s0
	s_cbranch_execz .LBB4_488
; %bb.483:
	v_mov_b32_e32 v3, 0
	s_mov_b32 s4, exec_lo
	global_load_b64 v[8:9], v3, s[2:3] offset:24 scope:SCOPE_SYS
	s_wait_loadcnt 0x0
	global_inv scope:SCOPE_SYS
	s_clause 0x1
	global_load_b64 v[6:7], v3, s[2:3] offset:40
	global_load_b64 v[10:11], v3, s[2:3]
	s_wait_loadcnt 0x1
	v_and_b32_e32 v6, v6, v8
	v_and_b32_e32 v7, v7, v9
	s_delay_alu instid0(VALU_DEP_1) | instskip(SKIP_1) | instid1(VALU_DEP_1)
	v_mul_u64_e32 v[6:7], 24, v[6:7]
	s_wait_loadcnt 0x0
	v_add_nc_u64_e32 v[6:7], v[10:11], v[6:7]
	global_load_b64 v[6:7], v[6:7], off scope:SCOPE_SYS
	s_wait_xcnt 0x0
	s_wait_loadcnt 0x0
	global_atomic_cmpswap_b64 v[10:11], v3, v[6:9], s[2:3] offset:24 th:TH_ATOMIC_RETURN scope:SCOPE_SYS
	s_wait_loadcnt 0x0
	global_inv scope:SCOPE_SYS
	s_wait_xcnt 0x0
	v_cmpx_ne_u64_e64 v[10:11], v[8:9]
	s_cbranch_execz .LBB4_487
; %bb.484:
	s_mov_b32 s5, 0
.LBB4_485:                              ; =>This Inner Loop Header: Depth=1
	s_sleep 1
	s_clause 0x1
	global_load_b64 v[6:7], v3, s[2:3] offset:40
	global_load_b64 v[12:13], v3, s[2:3]
	v_mov_b64_e32 v[8:9], v[10:11]
	s_wait_loadcnt 0x1
	s_delay_alu instid0(VALU_DEP_1) | instskip(SKIP_1) | instid1(VALU_DEP_1)
	v_and_b32_e32 v5, v6, v8
	s_wait_loadcnt 0x0
	v_mad_nc_u64_u32 v[10:11], v5, 24, v[12:13]
	s_delay_alu instid0(VALU_DEP_3) | instskip(NEXT) | instid1(VALU_DEP_1)
	v_and_b32_e32 v5, v7, v9
	v_mad_u32 v11, v5, 24, v11
	global_load_b64 v[6:7], v[10:11], off scope:SCOPE_SYS
	s_wait_xcnt 0x0
	s_wait_loadcnt 0x0
	global_atomic_cmpswap_b64 v[10:11], v3, v[6:9], s[2:3] offset:24 th:TH_ATOMIC_RETURN scope:SCOPE_SYS
	s_wait_loadcnt 0x0
	global_inv scope:SCOPE_SYS
	v_cmp_eq_u64_e32 vcc_lo, v[10:11], v[8:9]
	s_or_b32 s5, vcc_lo, s5
	s_wait_xcnt 0x0
	s_and_not1_b32 exec_lo, exec_lo, s5
	s_cbranch_execnz .LBB4_485
; %bb.486:
	s_or_b32 exec_lo, exec_lo, s5
.LBB4_487:
	s_delay_alu instid0(SALU_CYCLE_1)
	s_or_b32 exec_lo, exec_lo, s4
.LBB4_488:
	s_delay_alu instid0(SALU_CYCLE_1)
	s_or_b32 exec_lo, exec_lo, s1
	v_readfirstlane_b32 s4, v10
	v_mov_b32_e32 v3, 0
	v_readfirstlane_b32 s5, v11
	s_mov_b32 s1, exec_lo
	s_clause 0x1
	global_load_b64 v[12:13], v3, s[2:3] offset:40
	global_load_b128 v[6:9], v3, s[2:3]
	s_wait_loadcnt 0x1
	v_and_b32_e32 v12, s4, v12
	v_and_b32_e32 v13, s5, v13
	s_delay_alu instid0(VALU_DEP_1) | instskip(SKIP_1) | instid1(VALU_DEP_1)
	v_mul_u64_e32 v[10:11], 24, v[12:13]
	s_wait_loadcnt 0x0
	v_add_nc_u64_e32 v[10:11], v[6:7], v[10:11]
	s_wait_xcnt 0x0
	s_and_saveexec_b32 s6, s0
	s_cbranch_execz .LBB4_490
; %bb.489:
	v_mov_b64_e32 v[16:17], 0x100000002
	v_dual_mov_b32 v14, s1 :: v_dual_mov_b32 v15, v3
	global_store_b128 v[10:11], v[14:17], off offset:8
.LBB4_490:
	s_wait_xcnt 0x0
	s_or_b32 exec_lo, exec_lo, s6
	v_lshlrev_b64_e32 v[12:13], 12, v[12:13]
	s_mov_b32 s8, 0
	v_and_or_b32 v0, 0xffffff1d, v0, 34
	s_mov_b32 s10, s8
	s_mov_b32 s11, s8
	;; [unrolled: 1-line block ×3, first 2 shown]
	s_delay_alu instid0(VALU_DEP_2) | instskip(SKIP_2) | instid1(VALU_DEP_3)
	v_add_nc_u64_e32 v[8:9], v[8:9], v[12:13]
	v_mov_b64_e32 v[14:15], s[10:11]
	v_mov_b64_e32 v[12:13], s[8:9]
	v_readfirstlane_b32 s6, v8
	s_delay_alu instid0(VALU_DEP_4)
	v_readfirstlane_b32 s7, v9
	s_clause 0x3
	global_store_b128 v4, v[0:3], s[6:7]
	global_store_b128 v4, v[12:15], s[6:7] offset:16
	global_store_b128 v4, v[12:15], s[6:7] offset:32
	;; [unrolled: 1-line block ×3, first 2 shown]
	s_wait_xcnt 0x0
	s_and_saveexec_b32 s1, s0
	s_cbranch_execz .LBB4_498
; %bb.491:
	v_dual_mov_b32 v8, 0 :: v_dual_mov_b32 v13, s5
	s_mov_b32 s6, exec_lo
	s_clause 0x1
	global_load_b64 v[14:15], v8, s[2:3] offset:32 scope:SCOPE_SYS
	global_load_b64 v[0:1], v8, s[2:3] offset:40
	s_wait_loadcnt 0x0
	v_dual_mov_b32 v12, s4 :: v_dual_bitop2_b32 v1, s5, v1 bitop3:0x40
	v_and_b32_e32 v0, s4, v0
	s_delay_alu instid0(VALU_DEP_1) | instskip(NEXT) | instid1(VALU_DEP_1)
	v_mul_u64_e32 v[0:1], 24, v[0:1]
	v_add_nc_u64_e32 v[4:5], v[6:7], v[0:1]
	global_store_b64 v[4:5], v[14:15], off
	global_wb scope:SCOPE_SYS
	s_wait_storecnt 0x0
	s_wait_xcnt 0x0
	global_atomic_cmpswap_b64 v[2:3], v8, v[12:15], s[2:3] offset:32 th:TH_ATOMIC_RETURN scope:SCOPE_SYS
	s_wait_loadcnt 0x0
	v_cmpx_ne_u64_e64 v[2:3], v[14:15]
	s_cbranch_execz .LBB4_494
; %bb.492:
	s_mov_b32 s7, 0
.LBB4_493:                              ; =>This Inner Loop Header: Depth=1
	v_dual_mov_b32 v0, s4 :: v_dual_mov_b32 v1, s5
	s_sleep 1
	global_store_b64 v[4:5], v[2:3], off
	global_wb scope:SCOPE_SYS
	s_wait_storecnt 0x0
	s_wait_xcnt 0x0
	global_atomic_cmpswap_b64 v[0:1], v8, v[0:3], s[2:3] offset:32 th:TH_ATOMIC_RETURN scope:SCOPE_SYS
	s_wait_loadcnt 0x0
	v_cmp_eq_u64_e32 vcc_lo, v[0:1], v[2:3]
	v_mov_b64_e32 v[2:3], v[0:1]
	s_or_b32 s7, vcc_lo, s7
	s_delay_alu instid0(SALU_CYCLE_1)
	s_and_not1_b32 exec_lo, exec_lo, s7
	s_cbranch_execnz .LBB4_493
.LBB4_494:
	s_or_b32 exec_lo, exec_lo, s6
	v_mov_b32_e32 v3, 0
	s_mov_b32 s7, exec_lo
	s_mov_b32 s6, exec_lo
	v_mbcnt_lo_u32_b32 v2, s7, 0
	global_load_b64 v[0:1], v3, s[2:3] offset:16
	s_wait_xcnt 0x0
	v_cmpx_eq_u32_e32 0, v2
	s_cbranch_execz .LBB4_496
; %bb.495:
	s_bcnt1_i32_b32 s7, s7
	s_delay_alu instid0(SALU_CYCLE_1)
	v_mov_b32_e32 v2, s7
	global_wb scope:SCOPE_SYS
	s_wait_loadcnt 0x0
	s_wait_storecnt 0x0
	global_atomic_add_u64 v[0:1], v[2:3], off offset:8 scope:SCOPE_SYS
.LBB4_496:
	s_wait_xcnt 0x0
	s_or_b32 exec_lo, exec_lo, s6
	s_wait_loadcnt 0x0
	global_load_b64 v[2:3], v[0:1], off offset:16
	s_wait_loadcnt 0x0
	v_cmp_eq_u64_e32 vcc_lo, 0, v[2:3]
	s_cbranch_vccnz .LBB4_498
; %bb.497:
	global_load_b32 v0, v[0:1], off offset:24
	s_wait_xcnt 0x0
	v_mov_b32_e32 v1, 0
	s_wait_loadcnt 0x0
	v_readfirstlane_b32 s6, v0
	global_wb scope:SCOPE_SYS
	s_wait_storecnt 0x0
	global_store_b64 v[2:3], v[0:1], off scope:SCOPE_SYS
	s_and_b32 m0, s6, 0xffffff
	s_sendmsg sendmsg(MSG_INTERRUPT)
.LBB4_498:
	s_wait_xcnt 0x0
	s_or_b32 exec_lo, exec_lo, s1
	s_branch .LBB4_502
.LBB4_499:                              ;   in Loop: Header=BB4_502 Depth=1
	s_wait_xcnt 0x0
	s_or_b32 exec_lo, exec_lo, s1
	s_delay_alu instid0(VALU_DEP_1)
	v_readfirstlane_b32 s1, v0
	s_cmp_eq_u32 s1, 0
	s_cbranch_scc1 .LBB4_501
; %bb.500:                              ;   in Loop: Header=BB4_502 Depth=1
	s_sleep 1
	s_cbranch_execnz .LBB4_502
	s_branch .LBB4_504
.LBB4_501:
	s_branch .LBB4_504
.LBB4_502:                              ; =>This Inner Loop Header: Depth=1
	v_mov_b32_e32 v0, 1
	s_and_saveexec_b32 s1, s0
	s_cbranch_execz .LBB4_499
; %bb.503:                              ;   in Loop: Header=BB4_502 Depth=1
	global_load_b32 v0, v[10:11], off offset:20 scope:SCOPE_SYS
	s_wait_loadcnt 0x0
	global_inv scope:SCOPE_SYS
	v_and_b32_e32 v0, 1, v0
	s_branch .LBB4_499
.LBB4_504:
	s_and_b32 exec_lo, exec_lo, s0
	s_cbranch_execz .LBB4_508
; %bb.505:
	v_mov_b32_e32 v6, 0
	s_clause 0x2
	global_load_b64 v[0:1], v6, s[2:3] offset:40
	global_load_b64 v[10:11], v6, s[2:3] offset:24 scope:SCOPE_SYS
	global_load_b64 v[2:3], v6, s[2:3]
	s_wait_loadcnt 0x2
	v_readfirstlane_b32 s6, v0
	v_readfirstlane_b32 s7, v1
	s_add_nc_u64 s[0:1], s[6:7], 1
	s_delay_alu instid0(SALU_CYCLE_1) | instskip(NEXT) | instid1(SALU_CYCLE_1)
	s_add_nc_u64 s[4:5], s[0:1], s[4:5]
	s_cmp_eq_u64 s[4:5], 0
	s_cselect_b32 s1, s1, s5
	s_cselect_b32 s0, s0, s4
	v_mov_b32_e32 v9, s1
	s_and_b64 s[4:5], s[0:1], s[6:7]
	v_mov_b32_e32 v8, s0
	s_mul_u64 s[4:5], s[4:5], 24
	s_wait_loadcnt 0x0
	v_add_nc_u64_e32 v[4:5], s[4:5], v[2:3]
	global_store_b64 v[4:5], v[10:11], off
	global_wb scope:SCOPE_SYS
	s_wait_storecnt 0x0
	s_wait_xcnt 0x0
	global_atomic_cmpswap_b64 v[2:3], v6, v[8:11], s[2:3] offset:24 th:TH_ATOMIC_RETURN scope:SCOPE_SYS
	s_wait_loadcnt 0x0
	v_cmp_ne_u64_e32 vcc_lo, v[2:3], v[10:11]
	s_and_b32 exec_lo, exec_lo, vcc_lo
	s_cbranch_execz .LBB4_508
; %bb.506:
	s_mov_b32 s4, 0
.LBB4_507:                              ; =>This Inner Loop Header: Depth=1
	v_dual_mov_b32 v0, s0 :: v_dual_mov_b32 v1, s1
	s_sleep 1
	global_store_b64 v[4:5], v[2:3], off
	global_wb scope:SCOPE_SYS
	s_wait_storecnt 0x0
	s_wait_xcnt 0x0
	global_atomic_cmpswap_b64 v[0:1], v6, v[0:3], s[2:3] offset:24 th:TH_ATOMIC_RETURN scope:SCOPE_SYS
	s_wait_loadcnt 0x0
	v_cmp_eq_u64_e32 vcc_lo, v[0:1], v[2:3]
	v_mov_b64_e32 v[2:3], v[0:1]
	s_or_b32 s4, vcc_lo, s4
	s_delay_alu instid0(SALU_CYCLE_1)
	s_and_not1_b32 exec_lo, exec_lo, s4
	s_cbranch_execnz .LBB4_507
.LBB4_508:
	s_endpgm
	.section	.rodata,"a",@progbits
	.p2align	6, 0x0
	.amdhsa_kernel _Z30kernel_coalesced_active_groupsv
		.amdhsa_group_segment_fixed_size 0
		.amdhsa_private_segment_fixed_size 0
		.amdhsa_kernarg_size 256
		.amdhsa_user_sgpr_count 6
		.amdhsa_user_sgpr_dispatch_ptr 0
		.amdhsa_user_sgpr_queue_ptr 0
		.amdhsa_user_sgpr_kernarg_segment_ptr 1
		.amdhsa_user_sgpr_dispatch_id 0
		.amdhsa_user_sgpr_kernarg_preload_length 4
		.amdhsa_user_sgpr_kernarg_preload_offset 0
		.amdhsa_user_sgpr_private_segment_size 0
		.amdhsa_wavefront_size32 1
		.amdhsa_uses_dynamic_stack 0
		.amdhsa_enable_private_segment 0
		.amdhsa_system_sgpr_workgroup_id_x 1
		.amdhsa_system_sgpr_workgroup_id_y 0
		.amdhsa_system_sgpr_workgroup_id_z 0
		.amdhsa_system_sgpr_workgroup_info 0
		.amdhsa_system_vgpr_workitem_id 2
		.amdhsa_next_free_vgpr 36
		.amdhsa_next_free_sgpr 24
		.amdhsa_named_barrier_count 0
		.amdhsa_reserve_vcc 1
		.amdhsa_float_round_mode_32 0
		.amdhsa_float_round_mode_16_64 0
		.amdhsa_float_denorm_mode_32 3
		.amdhsa_float_denorm_mode_16_64 3
		.amdhsa_fp16_overflow 0
		.amdhsa_memory_ordered 1
		.amdhsa_forward_progress 1
		.amdhsa_inst_pref_size 171
		.amdhsa_round_robin_scheduling 0
		.amdhsa_exception_fp_ieee_invalid_op 0
		.amdhsa_exception_fp_denorm_src 0
		.amdhsa_exception_fp_ieee_div_zero 0
		.amdhsa_exception_fp_ieee_overflow 0
		.amdhsa_exception_fp_ieee_underflow 0
		.amdhsa_exception_fp_ieee_inexact 0
		.amdhsa_exception_int_div_zero 0
	.end_amdhsa_kernel
	.text
.Lfunc_end4:
	.size	_Z30kernel_coalesced_active_groupsv, .Lfunc_end4-_Z30kernel_coalesced_active_groupsv
                                        ; -- End function
	.set _Z30kernel_coalesced_active_groupsv.num_vgpr, 36
	.set _Z30kernel_coalesced_active_groupsv.num_agpr, 0
	.set _Z30kernel_coalesced_active_groupsv.numbered_sgpr, 24
	.set _Z30kernel_coalesced_active_groupsv.num_named_barrier, 0
	.set _Z30kernel_coalesced_active_groupsv.private_seg_size, 0
	.set _Z30kernel_coalesced_active_groupsv.uses_vcc, 1
	.set _Z30kernel_coalesced_active_groupsv.uses_flat_scratch, 0
	.set _Z30kernel_coalesced_active_groupsv.has_dyn_sized_stack, 0
	.set _Z30kernel_coalesced_active_groupsv.has_recursion, 0
	.set _Z30kernel_coalesced_active_groupsv.has_indirect_call, 0
	.section	.AMDGPU.csdata,"",@progbits
; Kernel info:
; codeLenInByte = 21884
; TotalNumSgprs: 26
; NumVgprs: 36
; ScratchSize: 0
; MemoryBound: 0
; FloatMode: 240
; IeeeMode: 1
; LDSByteSize: 0 bytes/workgroup (compile time only)
; SGPRBlocks: 0
; VGPRBlocks: 2
; NumSGPRsForWavesPerEU: 26
; NumVGPRsForWavesPerEU: 36
; NamedBarCnt: 0
; Occupancy: 16
; WaveLimiterHint : 1
; COMPUTE_PGM_RSRC2:SCRATCH_EN: 0
; COMPUTE_PGM_RSRC2:USER_SGPR: 6
; COMPUTE_PGM_RSRC2:TRAP_HANDLER: 0
; COMPUTE_PGM_RSRC2:TGID_X_EN: 1
; COMPUTE_PGM_RSRC2:TGID_Y_EN: 0
; COMPUTE_PGM_RSRC2:TGID_Z_EN: 0
; COMPUTE_PGM_RSRC2:TIDIG_COMP_CNT: 2
	.text
	.p2alignl 7, 3214868480
	.fill 96, 4, 3214868480
	.section	.AMDGPU.gpr_maximums,"",@progbits
	.set amdgpu.max_num_vgpr, 0
	.set amdgpu.max_num_agpr, 0
	.set amdgpu.max_num_sgpr, 0
	.text
	.type	.str,@object                    ; @.str
	.section	.rodata.str1.1,"aMS",@progbits,1
.str:
	.asciz	" Sum of all ranks 0..%d in coalesced_group is %d\n\n"
	.size	.str, 51

	.type	.str.1,@object                  ; @.str.1
.str.1:
	.asciz	" Creating %d groups, of tile size %d threads:\n\n"
	.size	.str.1, 48

	.type	.str.2,@object                  ; @.str.2
.str.2:
	.asciz	"   Sum of all ranks 0..%d in this tiledPartition group is %d. Corresponding parent thread rank obtained from meta_group_rank : %d and number of tiles created : %d\n"
	.size	.str.2, 164

	.type	.str.3,@object                  ; @.str.3
.str.3:
	.asciz	" Creating odd and even set of active thread groups based on branch divergence\n\n"
	.size	.str.3, 80

	.type	.str.4,@object                  ; @.str.4
.str.4:
	.asciz	" ODD: Size of odd set of active threads is %d. Corresponding parent thread_rank is %d.\n\n"
	.size	.str.4, 89

	.type	.str.5,@object                  ; @.str.5
.str.5:
	.asciz	" EVEN: Size of even set of active threads is %d. Corresponding parent thread_rank is %d."
	.size	.str.5, 89

	.type	__hip_cuid_e1b51ff5d866ed8e,@object ; @__hip_cuid_e1b51ff5d866ed8e
	.section	.bss,"aw",@nobits
	.globl	__hip_cuid_e1b51ff5d866ed8e
__hip_cuid_e1b51ff5d866ed8e:
	.byte	0                               ; 0x0
	.size	__hip_cuid_e1b51ff5d866ed8e, 1

	.ident	"AMD clang version 22.0.0git (https://github.com/RadeonOpenCompute/llvm-project roc-7.2.4 26084 f58b06dce1f9c15707c5f808fd002e18c2accf7e)"
	.section	".note.GNU-stack","",@progbits
	.addrsig
	.addrsig_sym __hip_cuid_e1b51ff5d866ed8e
	.amdgpu_metadata
---
amdhsa.kernels:
  - .args:
      - .address_space:  global
        .offset:         0
        .size:           8
        .value_kind:     global_buffer
      - .address_space:  global
        .offset:         8
        .size:           8
        .value_kind:     global_buffer
      - .offset:         16
        .size:           4
        .value_kind:     by_value
      - .offset:         20
        .size:           4
        .value_kind:     by_value
      - .offset:         24
        .size:           4
        .value_kind:     hidden_block_count_x
      - .offset:         28
        .size:           4
        .value_kind:     hidden_block_count_y
      - .offset:         32
        .size:           4
        .value_kind:     hidden_block_count_z
      - .offset:         36
        .size:           2
        .value_kind:     hidden_group_size_x
      - .offset:         38
        .size:           2
        .value_kind:     hidden_group_size_y
      - .offset:         40
        .size:           2
        .value_kind:     hidden_group_size_z
      - .offset:         42
        .size:           2
        .value_kind:     hidden_remainder_x
      - .offset:         44
        .size:           2
        .value_kind:     hidden_remainder_y
      - .offset:         46
        .size:           2
        .value_kind:     hidden_remainder_z
      - .offset:         64
        .size:           8
        .value_kind:     hidden_global_offset_x
      - .offset:         72
        .size:           8
        .value_kind:     hidden_global_offset_y
      - .offset:         80
        .size:           8
        .value_kind:     hidden_global_offset_z
      - .offset:         88
        .size:           2
        .value_kind:     hidden_grid_dims
    .group_segment_fixed_size: 0
    .kernarg_segment_align: 8
    .kernarg_segment_size: 280
    .language:       OpenCL C
    .language_version:
      - 2
      - 0
    .max_flat_workgroup_size: 1024
    .name:           _Z11kernel_shflPiS_ii
    .private_segment_fixed_size: 0
    .sgpr_count:     10
    .sgpr_spill_count: 0
    .symbol:         _Z11kernel_shflPiS_ii.kd
    .uniform_work_group_size: 1
    .uses_dynamic_stack: false
    .vgpr_count:     4
    .vgpr_spill_count: 0
    .wavefront_size: 32
  - .args:
      - .address_space:  global
        .offset:         0
        .size:           8
        .value_kind:     global_buffer
      - .address_space:  global
        .offset:         8
        .size:           8
        .value_kind:     global_buffer
      - .address_space:  global
        .offset:         16
        .size:           8
        .value_kind:     global_buffer
      - .offset:         24
        .size:           4
        .value_kind:     by_value
      - .offset:         32
        .size:           4
        .value_kind:     hidden_block_count_x
      - .offset:         36
        .size:           4
        .value_kind:     hidden_block_count_y
      - .offset:         40
        .size:           4
        .value_kind:     hidden_block_count_z
      - .offset:         44
        .size:           2
        .value_kind:     hidden_group_size_x
      - .offset:         46
        .size:           2
        .value_kind:     hidden_group_size_y
      - .offset:         48
        .size:           2
        .value_kind:     hidden_group_size_z
      - .offset:         50
        .size:           2
        .value_kind:     hidden_remainder_x
      - .offset:         52
        .size:           2
        .value_kind:     hidden_remainder_y
      - .offset:         54
        .size:           2
        .value_kind:     hidden_remainder_z
      - .offset:         72
        .size:           8
        .value_kind:     hidden_global_offset_x
      - .offset:         80
        .size:           8
        .value_kind:     hidden_global_offset_y
      - .offset:         88
        .size:           8
        .value_kind:     hidden_global_offset_z
      - .offset:         96
        .size:           2
        .value_kind:     hidden_grid_dims
    .group_segment_fixed_size: 0
    .kernarg_segment_align: 8
    .kernarg_segment_size: 288
    .language:       OpenCL C
    .language_version:
      - 2
      - 0
    .max_flat_workgroup_size: 1024
    .name:           _Z22kernel_shfl_any_to_anyPiS_S_i
    .private_segment_fixed_size: 0
    .sgpr_count:     14
    .sgpr_spill_count: 0
    .symbol:         _Z22kernel_shfl_any_to_anyPiS_S_i.kd
    .uniform_work_group_size: 1
    .uses_dynamic_stack: false
    .vgpr_count:     9
    .vgpr_spill_count: 0
    .wavefront_size: 32
  - .args:
      - .address_space:  global
        .offset:         0
        .size:           8
        .value_kind:     global_buffer
      - .address_space:  global
        .offset:         8
        .size:           8
        .value_kind:     global_buffer
      - .address_space:  global
        .offset:         16
        .size:           8
        .value_kind:     global_buffer
      - .offset:         24
        .size:           4
        .value_kind:     by_value
      - .offset:         32
        .size:           4
        .value_kind:     hidden_block_count_x
      - .offset:         36
        .size:           4
        .value_kind:     hidden_block_count_y
      - .offset:         40
        .size:           4
        .value_kind:     hidden_block_count_z
      - .offset:         44
        .size:           2
        .value_kind:     hidden_group_size_x
      - .offset:         46
        .size:           2
        .value_kind:     hidden_group_size_y
      - .offset:         48
        .size:           2
        .value_kind:     hidden_group_size_z
      - .offset:         50
        .size:           2
        .value_kind:     hidden_remainder_x
      - .offset:         52
        .size:           2
        .value_kind:     hidden_remainder_y
      - .offset:         54
        .size:           2
        .value_kind:     hidden_remainder_z
      - .offset:         72
        .size:           8
        .value_kind:     hidden_global_offset_x
      - .offset:         80
        .size:           8
        .value_kind:     hidden_global_offset_y
      - .offset:         88
        .size:           8
        .value_kind:     hidden_global_offset_z
      - .offset:         96
        .size:           2
        .value_kind:     hidden_grid_dims
    .group_segment_fixed_size: 0
    .kernarg_segment_align: 8
    .kernarg_segment_size: 288
    .language:       OpenCL C
    .language_version:
      - 2
      - 0
    .max_flat_workgroup_size: 1024
    .name:           _Z10filter_arrPiS_PKii
    .private_segment_fixed_size: 0
    .sgpr_count:     17
    .sgpr_spill_count: 0
    .symbol:         _Z10filter_arrPiS_PKii.kd
    .uniform_work_group_size: 1
    .uses_dynamic_stack: false
    .vgpr_count:     6
    .vgpr_spill_count: 0
    .wavefront_size: 32
  - .args:
      - .offset:         0
        .size:           4
        .value_kind:     by_value
      - .address_space:  global
        .offset:         8
        .size:           8
        .value_kind:     global_buffer
      - .offset:         16
        .size:           1
        .value_kind:     by_value
      - .address_space:  global
        .offset:         24
        .size:           8
        .value_kind:     global_buffer
      - .offset:         32
        .size:           4
        .value_kind:     by_value
      - .offset:         40
        .size:           4
        .value_kind:     hidden_block_count_x
      - .offset:         44
        .size:           4
        .value_kind:     hidden_block_count_y
      - .offset:         48
        .size:           4
        .value_kind:     hidden_block_count_z
      - .offset:         52
        .size:           2
        .value_kind:     hidden_group_size_x
      - .offset:         54
        .size:           2
        .value_kind:     hidden_group_size_y
      - .offset:         56
        .size:           2
        .value_kind:     hidden_group_size_z
      - .offset:         58
        .size:           2
        .value_kind:     hidden_remainder_x
      - .offset:         60
        .size:           2
        .value_kind:     hidden_remainder_y
      - .offset:         62
        .size:           2
        .value_kind:     hidden_remainder_z
      - .offset:         80
        .size:           8
        .value_kind:     hidden_global_offset_x
      - .offset:         88
        .size:           8
        .value_kind:     hidden_global_offset_y
      - .offset:         96
        .size:           8
        .value_kind:     hidden_global_offset_z
      - .offset:         104
        .size:           2
        .value_kind:     hidden_grid_dims
      - .offset:         120
        .size:           8
        .value_kind:     hidden_hostcall_buffer
      - .offset:         160
        .size:           4
        .value_kind:     hidden_dynamic_lds_size
    .group_segment_fixed_size: 0
    .kernarg_segment_align: 8
    .kernarg_segment_size: 296
    .language:       OpenCL C
    .language_version:
      - 2
      - 0
    .max_flat_workgroup_size: 1024
    .name:           _Z35kernel_cg_coalesced_group_partitionjPibS_i
    .private_segment_fixed_size: 0
    .sgpr_count:     32
    .sgpr_spill_count: 0
    .symbol:         _Z35kernel_cg_coalesced_group_partitionjPibS_i.kd
    .uniform_work_group_size: 1
    .uses_dynamic_stack: false
    .vgpr_count:     40
    .vgpr_spill_count: 0
    .wavefront_size: 32
  - .args:
      - .offset:         0
        .size:           4
        .value_kind:     hidden_block_count_x
      - .offset:         4
        .size:           4
        .value_kind:     hidden_block_count_y
      - .offset:         8
        .size:           4
        .value_kind:     hidden_block_count_z
      - .offset:         12
        .size:           2
        .value_kind:     hidden_group_size_x
      - .offset:         14
        .size:           2
        .value_kind:     hidden_group_size_y
      - .offset:         16
        .size:           2
        .value_kind:     hidden_group_size_z
      - .offset:         18
        .size:           2
        .value_kind:     hidden_remainder_x
      - .offset:         20
        .size:           2
        .value_kind:     hidden_remainder_y
      - .offset:         22
        .size:           2
        .value_kind:     hidden_remainder_z
      - .offset:         40
        .size:           8
        .value_kind:     hidden_global_offset_x
      - .offset:         48
        .size:           8
        .value_kind:     hidden_global_offset_y
      - .offset:         56
        .size:           8
        .value_kind:     hidden_global_offset_z
      - .offset:         64
        .size:           2
        .value_kind:     hidden_grid_dims
      - .offset:         80
        .size:           8
        .value_kind:     hidden_hostcall_buffer
    .group_segment_fixed_size: 0
    .kernarg_segment_align: 8
    .kernarg_segment_size: 256
    .language:       OpenCL C
    .language_version:
      - 2
      - 0
    .max_flat_workgroup_size: 1024
    .name:           _Z30kernel_coalesced_active_groupsv
    .private_segment_fixed_size: 0
    .sgpr_count:     26
    .sgpr_spill_count: 0
    .symbol:         _Z30kernel_coalesced_active_groupsv.kd
    .uniform_work_group_size: 1
    .uses_dynamic_stack: false
    .vgpr_count:     36
    .vgpr_spill_count: 0
    .wavefront_size: 32
amdhsa.target:   amdgcn-amd-amdhsa--gfx1250
amdhsa.version:
  - 1
  - 2
...

	.end_amdgpu_metadata
